;; amdgpu-corpus repo=ROCm/rocFFT kind=compiled arch=gfx1030 opt=O3
	.text
	.amdgcn_target "amdgcn-amd-amdhsa--gfx1030"
	.amdhsa_code_object_version 6
	.protected	fft_rtc_fwd_len3750_factors_3_5_5_10_5_wgs_125_tpt_125_halfLds_sp_op_CI_CI_unitstride_sbrr_dirReg ; -- Begin function fft_rtc_fwd_len3750_factors_3_5_5_10_5_wgs_125_tpt_125_halfLds_sp_op_CI_CI_unitstride_sbrr_dirReg
	.globl	fft_rtc_fwd_len3750_factors_3_5_5_10_5_wgs_125_tpt_125_halfLds_sp_op_CI_CI_unitstride_sbrr_dirReg
	.p2align	8
	.type	fft_rtc_fwd_len3750_factors_3_5_5_10_5_wgs_125_tpt_125_halfLds_sp_op_CI_CI_unitstride_sbrr_dirReg,@function
fft_rtc_fwd_len3750_factors_3_5_5_10_5_wgs_125_tpt_125_halfLds_sp_op_CI_CI_unitstride_sbrr_dirReg: ; @fft_rtc_fwd_len3750_factors_3_5_5_10_5_wgs_125_tpt_125_halfLds_sp_op_CI_CI_unitstride_sbrr_dirReg
; %bb.0:
	s_clause 0x2
	s_load_dwordx4 s[12:15], s[4:5], 0x0
	s_load_dwordx4 s[8:11], s[4:5], 0x58
	;; [unrolled: 1-line block ×3, first 2 shown]
	v_mul_u32_u24_e32 v2, 0x20d, v0
	v_mov_b32_e32 v1, 0
	v_mov_b32_e32 v4, 0
	;; [unrolled: 1-line block ×3, first 2 shown]
	v_add_nc_u32_sdwa v6, s6, v2 dst_sel:DWORD dst_unused:UNUSED_PAD src0_sel:DWORD src1_sel:WORD_1
	v_mov_b32_e32 v7, v1
	s_waitcnt lgkmcnt(0)
	v_cmp_lt_u64_e64 s0, s[14:15], 2
	s_and_b32 vcc_lo, exec_lo, s0
	s_cbranch_vccnz .LBB0_8
; %bb.1:
	s_load_dwordx2 s[0:1], s[4:5], 0x10
	v_mov_b32_e32 v4, 0
	v_mov_b32_e32 v5, 0
	s_add_u32 s2, s18, 8
	s_addc_u32 s3, s19, 0
	s_add_u32 s6, s16, 8
	s_addc_u32 s7, s17, 0
	v_mov_b32_e32 v17, v5
	v_mov_b32_e32 v16, v4
	s_mov_b64 s[22:23], 1
	s_waitcnt lgkmcnt(0)
	s_add_u32 s20, s0, 8
	s_addc_u32 s21, s1, 0
.LBB0_2:                                ; =>This Inner Loop Header: Depth=1
	s_load_dwordx2 s[24:25], s[20:21], 0x0
                                        ; implicit-def: $vgpr18_vgpr19
	s_mov_b32 s0, exec_lo
	s_waitcnt lgkmcnt(0)
	v_or_b32_e32 v2, s25, v7
	v_cmpx_ne_u64_e32 0, v[1:2]
	s_xor_b32 s1, exec_lo, s0
	s_cbranch_execz .LBB0_4
; %bb.3:                                ;   in Loop: Header=BB0_2 Depth=1
	v_cvt_f32_u32_e32 v2, s24
	v_cvt_f32_u32_e32 v3, s25
	s_sub_u32 s0, 0, s24
	s_subb_u32 s26, 0, s25
	v_fmac_f32_e32 v2, 0x4f800000, v3
	v_rcp_f32_e32 v2, v2
	v_mul_f32_e32 v2, 0x5f7ffffc, v2
	v_mul_f32_e32 v3, 0x2f800000, v2
	v_trunc_f32_e32 v3, v3
	v_fmac_f32_e32 v2, 0xcf800000, v3
	v_cvt_u32_f32_e32 v3, v3
	v_cvt_u32_f32_e32 v2, v2
	v_mul_lo_u32 v8, s0, v3
	v_mul_hi_u32 v9, s0, v2
	v_mul_lo_u32 v10, s26, v2
	v_add_nc_u32_e32 v8, v9, v8
	v_mul_lo_u32 v9, s0, v2
	v_add_nc_u32_e32 v8, v8, v10
	v_mul_hi_u32 v10, v2, v9
	v_mul_lo_u32 v11, v2, v8
	v_mul_hi_u32 v12, v2, v8
	v_mul_hi_u32 v13, v3, v9
	v_mul_lo_u32 v9, v3, v9
	v_mul_hi_u32 v14, v3, v8
	v_mul_lo_u32 v8, v3, v8
	v_add_co_u32 v10, vcc_lo, v10, v11
	v_add_co_ci_u32_e32 v11, vcc_lo, 0, v12, vcc_lo
	v_add_co_u32 v9, vcc_lo, v10, v9
	v_add_co_ci_u32_e32 v9, vcc_lo, v11, v13, vcc_lo
	v_add_co_ci_u32_e32 v10, vcc_lo, 0, v14, vcc_lo
	v_add_co_u32 v8, vcc_lo, v9, v8
	v_add_co_ci_u32_e32 v9, vcc_lo, 0, v10, vcc_lo
	v_add_co_u32 v2, vcc_lo, v2, v8
	v_add_co_ci_u32_e32 v3, vcc_lo, v3, v9, vcc_lo
	v_mul_hi_u32 v8, s0, v2
	v_mul_lo_u32 v10, s26, v2
	v_mul_lo_u32 v9, s0, v3
	v_add_nc_u32_e32 v8, v8, v9
	v_mul_lo_u32 v9, s0, v2
	v_add_nc_u32_e32 v8, v8, v10
	v_mul_hi_u32 v10, v2, v9
	v_mul_lo_u32 v11, v2, v8
	v_mul_hi_u32 v12, v2, v8
	v_mul_hi_u32 v13, v3, v9
	v_mul_lo_u32 v9, v3, v9
	v_mul_hi_u32 v14, v3, v8
	v_mul_lo_u32 v8, v3, v8
	v_add_co_u32 v10, vcc_lo, v10, v11
	v_add_co_ci_u32_e32 v11, vcc_lo, 0, v12, vcc_lo
	v_add_co_u32 v9, vcc_lo, v10, v9
	v_add_co_ci_u32_e32 v9, vcc_lo, v11, v13, vcc_lo
	v_add_co_ci_u32_e32 v10, vcc_lo, 0, v14, vcc_lo
	v_add_co_u32 v8, vcc_lo, v9, v8
	v_add_co_ci_u32_e32 v9, vcc_lo, 0, v10, vcc_lo
	v_add_co_u32 v8, vcc_lo, v2, v8
	v_add_co_ci_u32_e32 v10, vcc_lo, v3, v9, vcc_lo
	v_mul_hi_u32 v12, v6, v8
	v_mad_u64_u32 v[8:9], null, v7, v8, 0
	v_mad_u64_u32 v[2:3], null, v6, v10, 0
	;; [unrolled: 1-line block ×3, first 2 shown]
	v_add_co_u32 v2, vcc_lo, v12, v2
	v_add_co_ci_u32_e32 v3, vcc_lo, 0, v3, vcc_lo
	v_add_co_u32 v2, vcc_lo, v2, v8
	v_add_co_ci_u32_e32 v2, vcc_lo, v3, v9, vcc_lo
	v_add_co_ci_u32_e32 v3, vcc_lo, 0, v11, vcc_lo
	v_add_co_u32 v8, vcc_lo, v2, v10
	v_add_co_ci_u32_e32 v9, vcc_lo, 0, v3, vcc_lo
	v_mul_lo_u32 v10, s25, v8
	v_mad_u64_u32 v[2:3], null, s24, v8, 0
	v_mul_lo_u32 v11, s24, v9
	v_sub_co_u32 v2, vcc_lo, v6, v2
	v_add3_u32 v3, v3, v11, v10
	v_sub_nc_u32_e32 v10, v7, v3
	v_subrev_co_ci_u32_e64 v10, s0, s25, v10, vcc_lo
	v_add_co_u32 v11, s0, v8, 2
	v_add_co_ci_u32_e64 v12, s0, 0, v9, s0
	v_sub_co_u32 v13, s0, v2, s24
	v_sub_co_ci_u32_e32 v3, vcc_lo, v7, v3, vcc_lo
	v_subrev_co_ci_u32_e64 v10, s0, 0, v10, s0
	v_cmp_le_u32_e32 vcc_lo, s24, v13
	v_cmp_eq_u32_e64 s0, s25, v3
	v_cndmask_b32_e64 v13, 0, -1, vcc_lo
	v_cmp_le_u32_e32 vcc_lo, s25, v10
	v_cndmask_b32_e64 v14, 0, -1, vcc_lo
	v_cmp_le_u32_e32 vcc_lo, s24, v2
	;; [unrolled: 2-line block ×3, first 2 shown]
	v_cndmask_b32_e64 v15, 0, -1, vcc_lo
	v_cmp_eq_u32_e32 vcc_lo, s25, v10
	v_cndmask_b32_e64 v2, v15, v2, s0
	v_cndmask_b32_e32 v10, v14, v13, vcc_lo
	v_add_co_u32 v13, vcc_lo, v8, 1
	v_add_co_ci_u32_e32 v14, vcc_lo, 0, v9, vcc_lo
	v_cmp_ne_u32_e32 vcc_lo, 0, v10
	v_cndmask_b32_e32 v3, v14, v12, vcc_lo
	v_cndmask_b32_e32 v10, v13, v11, vcc_lo
	v_cmp_ne_u32_e32 vcc_lo, 0, v2
	v_cndmask_b32_e32 v19, v9, v3, vcc_lo
	v_cndmask_b32_e32 v18, v8, v10, vcc_lo
.LBB0_4:                                ;   in Loop: Header=BB0_2 Depth=1
	s_andn2_saveexec_b32 s0, s1
	s_cbranch_execz .LBB0_6
; %bb.5:                                ;   in Loop: Header=BB0_2 Depth=1
	v_cvt_f32_u32_e32 v2, s24
	s_sub_i32 s1, 0, s24
	v_mov_b32_e32 v19, v1
	v_rcp_iflag_f32_e32 v2, v2
	v_mul_f32_e32 v2, 0x4f7ffffe, v2
	v_cvt_u32_f32_e32 v2, v2
	v_mul_lo_u32 v3, s1, v2
	v_mul_hi_u32 v3, v2, v3
	v_add_nc_u32_e32 v2, v2, v3
	v_mul_hi_u32 v2, v6, v2
	v_mul_lo_u32 v3, v2, s24
	v_add_nc_u32_e32 v8, 1, v2
	v_sub_nc_u32_e32 v3, v6, v3
	v_subrev_nc_u32_e32 v9, s24, v3
	v_cmp_le_u32_e32 vcc_lo, s24, v3
	v_cndmask_b32_e32 v3, v3, v9, vcc_lo
	v_cndmask_b32_e32 v2, v2, v8, vcc_lo
	v_cmp_le_u32_e32 vcc_lo, s24, v3
	v_add_nc_u32_e32 v8, 1, v2
	v_cndmask_b32_e32 v18, v2, v8, vcc_lo
.LBB0_6:                                ;   in Loop: Header=BB0_2 Depth=1
	s_or_b32 exec_lo, exec_lo, s0
	v_mul_lo_u32 v8, v19, s24
	v_mul_lo_u32 v9, v18, s25
	s_load_dwordx2 s[0:1], s[6:7], 0x0
	v_mad_u64_u32 v[2:3], null, v18, s24, 0
	s_load_dwordx2 s[24:25], s[2:3], 0x0
	s_add_u32 s22, s22, 1
	s_addc_u32 s23, s23, 0
	s_add_u32 s2, s2, 8
	s_addc_u32 s3, s3, 0
	s_add_u32 s6, s6, 8
	v_add3_u32 v3, v3, v9, v8
	v_sub_co_u32 v2, vcc_lo, v6, v2
	s_addc_u32 s7, s7, 0
	s_add_u32 s20, s20, 8
	v_sub_co_ci_u32_e32 v3, vcc_lo, v7, v3, vcc_lo
	s_addc_u32 s21, s21, 0
	s_waitcnt lgkmcnt(0)
	v_mul_lo_u32 v6, s0, v3
	v_mul_lo_u32 v7, s1, v2
	v_mad_u64_u32 v[4:5], null, s0, v2, v[4:5]
	v_mul_lo_u32 v3, s24, v3
	v_mul_lo_u32 v8, s25, v2
	v_mad_u64_u32 v[16:17], null, s24, v2, v[16:17]
	v_cmp_ge_u64_e64 s0, s[22:23], s[14:15]
	v_add3_u32 v5, v7, v5, v6
	v_add3_u32 v17, v8, v17, v3
	s_and_b32 vcc_lo, exec_lo, s0
	s_cbranch_vccnz .LBB0_9
; %bb.7:                                ;   in Loop: Header=BB0_2 Depth=1
	v_mov_b32_e32 v6, v18
	v_mov_b32_e32 v7, v19
	s_branch .LBB0_2
.LBB0_8:
	v_mov_b32_e32 v17, v5
	v_mov_b32_e32 v19, v7
	;; [unrolled: 1-line block ×4, first 2 shown]
.LBB0_9:
	s_load_dwordx2 s[0:1], s[4:5], 0x28
	v_mul_hi_u32 v2, 0x20c49bb, v0
	s_lshl_b64 s[4:5], s[14:15], 3
                                        ; implicit-def: $vgpr90
	s_add_u32 s2, s18, s4
	s_addc_u32 s3, s19, s5
	s_waitcnt lgkmcnt(0)
	v_cmp_gt_u64_e32 vcc_lo, s[0:1], v[18:19]
	v_cmp_le_u64_e64 s0, s[0:1], v[18:19]
	s_and_saveexec_b32 s1, s0
	s_xor_b32 s0, exec_lo, s1
; %bb.10:
	v_mul_u32_u24_e32 v1, 0x7d, v2
                                        ; implicit-def: $vgpr2
                                        ; implicit-def: $vgpr4_vgpr5
	v_sub_nc_u32_e32 v90, v0, v1
                                        ; implicit-def: $vgpr0
; %bb.11:
	s_or_saveexec_b32 s1, s0
                                        ; implicit-def: $vgpr63
                                        ; implicit-def: $vgpr65
                                        ; implicit-def: $vgpr3
                                        ; implicit-def: $vgpr73
                                        ; implicit-def: $vgpr67
                                        ; implicit-def: $vgpr14
                                        ; implicit-def: $vgpr71
                                        ; implicit-def: $vgpr77
                                        ; implicit-def: $vgpr1
                                        ; implicit-def: $vgpr47
                                        ; implicit-def: $vgpr59
                                        ; implicit-def: $vgpr12
                                        ; implicit-def: $vgpr61
                                        ; implicit-def: $vgpr41
                                        ; implicit-def: $vgpr21
                                        ; implicit-def: $vgpr57
                                        ; implicit-def: $vgpr31
                                        ; implicit-def: $vgpr25
                                        ; implicit-def: $vgpr29
                                        ; implicit-def: $vgpr33
                                        ; implicit-def: $vgpr23
                                        ; implicit-def: $vgpr37
                                        ; implicit-def: $vgpr39
                                        ; implicit-def: $vgpr69
                                        ; implicit-def: $vgpr6
                                        ; implicit-def: $vgpr8
                                        ; implicit-def: $vgpr75
                                        ; implicit-def: $vgpr89
                                        ; implicit-def: $vgpr27
                                        ; implicit-def: $vgpr79
	s_xor_b32 exec_lo, exec_lo, s1
	s_cbranch_execz .LBB0_13
; %bb.12:
	s_add_u32 s4, s16, s4
	s_addc_u32 s5, s17, s5
	v_mul_u32_u24_e32 v8, 0x7d, v2
	s_load_dwordx2 s[4:5], s[4:5], 0x0
	v_sub_nc_u32_e32 v90, v0, v8
	s_waitcnt lgkmcnt(0)
	v_mul_lo_u32 v1, s5, v18
	v_mul_lo_u32 v3, s4, v19
	v_mad_u64_u32 v[6:7], null, s4, v18, 0
	v_add3_u32 v7, v7, v3, v1
	v_lshlrev_b64 v[3:4], 3, v[4:5]
	v_lshlrev_b64 v[1:2], 3, v[6:7]
	v_add_co_u32 v0, s0, s8, v1
	v_add_co_ci_u32_e64 v1, s0, s9, v2, s0
	v_lshlrev_b32_e32 v2, 3, v90
	v_add_co_u32 v0, s0, v0, v3
	v_add_co_ci_u32_e64 v1, s0, v1, v4, s0
	v_add_co_u32 v2, s0, v0, v2
	v_add_co_ci_u32_e64 v3, s0, 0, v1, s0
	;; [unrolled: 2-line block ×9, first 2 shown]
	s_clause 0x8
	global_load_dwordx2 v[26:27], v[7:8], off offset:1808
	global_load_dwordx2 v[22:23], v[11:12], off offset:952
	;; [unrolled: 1-line block ×9, first 2 shown]
	v_add_co_u32 v0, s0, 0x1000, v2
	v_add_co_ci_u32_e64 v1, s0, 0, v3, s0
	v_add_co_u32 v13, s0, 0x3800, v2
	v_add_co_ci_u32_e64 v14, s0, 0, v3, s0
	;; [unrolled: 2-line block ×6, first 2 shown]
	s_clause 0xb
	global_load_dwordx2 v[56:57], v[20:21], off offset:1472
	global_load_dwordx2 v[20:21], v[0:1], off offset:904
	;; [unrolled: 1-line block ×12, first 2 shown]
	v_add_co_u32 v42, s0, 0x7000, v2
	v_add_co_ci_u32_e64 v43, s0, 0, v3, s0
	s_clause 0x8
	global_load_dwordx2 v[78:79], v[2:3], off
	global_load_dwordx2 v[74:75], v[2:3], off offset:1000
	global_load_dwordx2 v[68:69], v[2:3], off offset:2000
	;; [unrolled: 1-line block ×8, first 2 shown]
.LBB0_13:
	s_or_b32 exec_lo, exec_lo, s1
	s_waitcnt vmcnt(3)
	v_add_f32_e32 v4, v88, v26
	v_add_f32_e32 v9, v26, v78
	v_sub_f32_e32 v10, v27, v89
	v_add_f32_e32 v15, v5, v7
	v_sub_f32_e32 v34, v8, v6
	v_fmac_f32_e32 v78, -0.5, v4
	v_add_f32_e32 v4, v7, v74
	v_add_f32_e32 v42, v36, v38
	v_fmac_f32_e32 v74, -0.5, v15
	v_sub_f32_e32 v104, v7, v5
	v_fmamk_f32 v15, v10, 0x3f5db3d7, v78
	v_fmac_f32_e32 v78, 0xbf5db3d7, v10
	v_add_f32_e32 v10, v8, v75
	v_add_f32_e32 v8, v6, v8
	;; [unrolled: 1-line block ×5, first 2 shown]
	v_fmamk_f32 v35, v34, 0x3f5db3d7, v74
	v_fmac_f32_e32 v75, -0.5, v8
	v_add_f32_e32 v8, v56, v30
	v_fmac_f32_e32 v74, 0xbf5db3d7, v34
	v_add_f32_e32 v103, v6, v10
	v_add_f32_e32 v6, v38, v68
	v_fmac_f32_e32 v68, -0.5, v42
	v_sub_f32_e32 v10, v39, v37
	v_add_f32_e32 v34, v32, v22
	v_fmac_f32_e32 v22, -0.5, v5
	v_sub_f32_e32 v5, v33, v29
	;; [unrolled: 3-line block ×3, first 2 shown]
	v_add_f32_e32 v44, v46, v58
	v_add_f32_e32 v45, v40, v20
	v_fmac_f32_e32 v20, -0.5, v43
	v_sub_f32_e32 v43, v41, v61
	v_add_f32_e32 v9, v88, v9
	v_fmamk_f32 v7, v10, 0x3f5db3d7, v68
	v_fmac_f32_e32 v68, 0xbf5db3d7, v10
	v_fmamk_f32 v10, v5, 0x3f5db3d7, v22
	v_fmac_f32_e32 v22, 0xbf5db3d7, v5
	v_fmamk_f32 v5, v8, 0x3f5db3d7, v24
	v_add_f32_e32 v48, v58, v11
	v_fmac_f32_e32 v11, -0.5, v44
	v_sub_f32_e32 v44, v59, v47
	v_fmac_f32_e32 v24, 0xbf5db3d7, v8
	v_fmamk_f32 v8, v43, 0x3f5db3d7, v20
	v_fmac_f32_e32 v20, 0xbf5db3d7, v43
	v_add_f32_e32 v43, v70, v76
	v_mad_u32_u24 v105, v90, 12, 0
	v_fmamk_f32 v49, v44, 0x3f5db3d7, v11
	v_fmac_f32_e32 v11, 0xbf5db3d7, v44
	v_add_f32_e32 v44, v76, v0
	v_fmac_f32_e32 v0, -0.5, v43
	v_sub_f32_e32 v43, v77, v71
	ds_write2_b32 v105, v9, v15 offset1:1
	v_add_nc_u32_e32 v15, 0x5dc, v105
	v_add_f32_e32 v6, v36, v6
	v_add_f32_e32 v34, v28, v34
	v_fmamk_f32 v9, v43, 0x3f5db3d7, v0
	v_fmac_f32_e32 v0, 0xbf5db3d7, v43
	s_waitcnt vmcnt(1)
	v_add_f32_e32 v43, v72, v66
	ds_write2_b32 v15, v4, v35 offset1:1
	v_add_nc_u32_e32 v106, 0xbb8, v105
	s_waitcnt vmcnt(0)
	v_add_f32_e32 v35, v62, v64
	v_add_nc_u32_e32 v107, 0x1194, v105
	v_add_f32_e32 v45, v60, v45
	v_add_f32_e32 v42, v56, v42
	v_add_nc_u32_e32 v108, 0x1770, v105
	s_load_dwordx2 s[2:3], s[2:3], 0x0
	v_add_f32_e32 v4, v66, v13
	v_fmac_f32_e32 v13, -0.5, v43
	ds_write2_b32 v106, v6, v7 offset1:1
	v_add_f32_e32 v6, v64, v2
	v_fmac_f32_e32 v2, -0.5, v35
	v_sub_f32_e32 v7, v67, v73
	ds_write2_b32 v107, v34, v10 offset1:1
	v_sub_f32_e32 v10, v65, v63
	ds_write_b32 v105, v78 offset:8
	ds_write_b32 v105, v74 offset:1508
	;; [unrolled: 1-line block ×4, first 2 shown]
	ds_write2_b32 v108, v42, v5 offset1:1
	v_add_nc_u32_e32 v22, 0x1d50, v105
	ds_write_b32 v105, v24 offset:6008
	ds_write_b32 v105, v45 offset:7500
	v_add_nc_u32_e32 v24, 0x232c, v105
	v_add_f32_e32 v43, v46, v48
	v_add_f32_e32 v35, v70, v44
	v_add_nc_u32_e32 v109, 0x2904, v105
	v_add_f32_e32 v4, v72, v4
	v_fmamk_f32 v34, v7, 0x3f5db3d7, v13
	v_fmac_f32_e32 v13, 0xbf5db3d7, v7
	v_fmamk_f32 v7, v10, 0x3f5db3d7, v2
	v_fmac_f32_e32 v2, 0xbf5db3d7, v10
	ds_write2_b32 v22, v8, v20 offset1:1
	ds_write_b32 v105, v43 offset:9000
	v_add_nc_u32_e32 v110, 0x2ee0, v105
	ds_write2_b32 v24, v49, v11 offset1:1
	ds_write2_b32 v109, v35, v9 offset1:1
	ds_write_b32 v105, v0 offset:10508
	v_add_nc_u32_e32 v0, 0x34c0, v105
	v_add_f32_e32 v6, v62, v6
	ds_write2_b32 v110, v4, v34 offset1:1
	ds_write_b32 v105, v13 offset:12008
	ds_write_b32 v105, v6 offset:13500
	ds_write2_b32 v0, v7, v2 offset1:1
	v_add_f32_e32 v2, v39, v69
	v_add_f32_e32 v13, v37, v39
	v_lshl_add_u32 v68, v90, 2, 0
	v_sub_f32_e32 v36, v38, v36
	v_sub_f32_e32 v28, v32, v28
	v_add_f32_e32 v2, v37, v2
	v_add_f32_e32 v37, v29, v33
	v_fmac_f32_e32 v69, -0.5, v13
	v_add_f32_e32 v13, v33, v23
	v_fmamk_f32 v20, v104, 0xbf5db3d7, v75
	v_add_nc_u32_e32 v91, 0xa00, v68
	v_fmac_f32_e32 v23, -0.5, v37
	v_fmamk_f32 v32, v36, 0xbf5db3d7, v69
	v_add_nc_u32_e32 v92, 0x1600, v68
	v_add_f32_e32 v13, v29, v13
	v_add_nc_u32_e32 v74, 0x2200, v68
	v_fmamk_f32 v29, v28, 0xbf5db3d7, v23
	v_add_nc_u32_e32 v78, 0x2e00, v68
	s_waitcnt lgkmcnt(0)
	s_barrier
	buffer_gl0_inv
	v_add_nc_u32_e32 v93, 0x200, v68
	v_add_nc_u32_e32 v94, 0xe00, v68
	;; [unrolled: 1-line block ×10, first 2 shown]
	ds_read2_b32 v[8:9], v68 offset1:125
	ds_read2_b32 v[54:55], v91 offset0:110 offset1:235
	ds_read2_b32 v[52:53], v92 offset0:92 offset1:217
	;; [unrolled: 1-line block ×14, first 2 shown]
	s_waitcnt lgkmcnt(0)
	s_barrier
	buffer_gl0_inv
	v_add_f32_e32 v33, v57, v31
	ds_write2_b32 v15, v103, v20 offset1:1
	ds_write2_b32 v106, v2, v32 offset1:1
	;; [unrolled: 1-line block ×3, first 2 shown]
	v_add_f32_e32 v13, v89, v27
	v_add_f32_e32 v31, v31, v25
	v_sub_f32_e32 v30, v30, v56
	v_fmac_f32_e32 v25, -0.5, v33
	v_add_f32_e32 v2, v27, v79
	v_sub_f32_e32 v15, v26, v88
	v_fmac_f32_e32 v79, -0.5, v13
	v_add_f32_e32 v31, v57, v31
	v_fmamk_f32 v33, v30, 0xbf5db3d7, v25
	v_add_f32_e32 v2, v89, v2
	v_fmac_f32_e32 v75, 0x3f5db3d7, v104
	v_fmamk_f32 v56, v15, 0xbf5db3d7, v79
	v_fmac_f32_e32 v79, 0x3f5db3d7, v15
	ds_write2_b32 v108, v31, v33 offset1:1
	v_add_f32_e32 v20, v41, v21
	v_fmac_f32_e32 v69, 0x3f5db3d7, v36
	ds_write2_b32 v105, v2, v56 offset1:1
	ds_write_b32 v105, v79 offset:8
	ds_write_b32 v105, v75 offset:1508
	v_add_nc_u32_e32 v56, 0xfa, v90
	v_mov_b32_e32 v36, 0xaaab
	v_add_f32_e32 v26, v61, v41
	v_add_f32_e32 v31, v61, v20
	;; [unrolled: 1-line block ×3, first 2 shown]
	v_sub_f32_e32 v32, v58, v46
	v_mul_u32_u24_sdwa v15, v56, v36 dst_sel:DWORD dst_unused:UNUSED_PAD src0_sel:WORD_0 src1_sel:DWORD
	v_add_nc_u32_e32 v58, 0x177, v90
	v_sub_f32_e32 v27, v40, v60
	v_fmac_f32_e32 v21, -0.5, v26
	v_add_f32_e32 v29, v59, v12
	v_add_f32_e32 v37, v71, v77
	;; [unrolled: 1-line block ×5, first 2 shown]
	v_fmac_f32_e32 v12, -0.5, v20
	v_fmac_f32_e32 v23, 0x3f5db3d7, v28
	v_lshrrev_b32_e32 v20, 17, v15
	v_mul_u32_u24_sdwa v15, v58, v36 dst_sel:DWORD dst_unused:UNUSED_PAD src0_sel:WORD_0 src1_sel:DWORD
	v_fmac_f32_e32 v25, 0x3f5db3d7, v30
	v_fmamk_f32 v2, v27, 0xbf5db3d7, v21
	v_fmac_f32_e32 v21, 0x3f5db3d7, v27
	v_add_f32_e32 v33, v77, v1
	v_add_f32_e32 v29, v47, v29
	v_sub_f32_e32 v38, v76, v70
	v_sub_f32_e32 v41, v66, v72
	v_add_f32_e32 v13, v73, v39
	v_add_f32_e32 v39, v65, v3
	v_sub_f32_e32 v47, v64, v62
	ds_write_b32 v105, v69 offset:3008
	v_fmac_f32_e32 v1, -0.5, v37
	v_fmac_f32_e32 v14, -0.5, v40
	;; [unrolled: 1-line block ×3, first 2 shown]
	ds_write_b32 v105, v23 offset:4508
	ds_write_b32 v105, v25 offset:6008
	;; [unrolled: 1-line block ×3, first 2 shown]
	ds_write2_b32 v22, v2, v21 offset1:1
	v_mul_lo_u16 v2, v20, 3
	v_lshrrev_b32_e32 v15, 17, v15
	v_add_f32_e32 v57, v63, v39
	v_fmamk_f32 v26, v32, 0xbf5db3d7, v12
	v_fmac_f32_e32 v12, 0x3f5db3d7, v32
	v_fmamk_f32 v23, v38, 0xbf5db3d7, v1
	v_fmac_f32_e32 v1, 0x3f5db3d7, v38
	v_fmamk_f32 v25, v41, 0xbf5db3d7, v14
	v_fmamk_f32 v27, v47, 0xbf5db3d7, v3
	v_fmac_f32_e32 v3, 0x3f5db3d7, v47
	v_sub_nc_u16 v21, v56, v2
	v_mul_lo_u16 v2, v15, 3
	v_and_b32_e32 v39, 0xff, v90
	v_add_nc_u32_e32 v59, 0x1f4, v90
	v_add_f32_e32 v33, v71, v33
	v_fmac_f32_e32 v14, 0x3f5db3d7, v41
	ds_write_b32 v105, v29 offset:9000
	ds_write2_b32 v24, v26, v12 offset1:1
	ds_write2_b32 v109, v33, v23 offset1:1
	v_mov_b32_e32 v38, 5
	ds_write_b32 v105, v1 offset:10508
	ds_write2_b32 v110, v13, v25 offset1:1
	ds_write_b32 v105, v14 offset:12008
	ds_write_b32 v105, v57 offset:13500
	v_sub_nc_u16 v14, v58, v2
	v_mul_lo_u16 v1, 0xab, v39
	ds_write2_b32 v0, v27, v3 offset1:1
	v_mul_u32_u24_sdwa v3, v59, v36 dst_sel:DWORD dst_unused:UNUSED_PAD src0_sel:WORD_0 src1_sel:DWORD
	v_add_nc_u32_e32 v57, 0x7d, v90
	v_lshlrev_b32_sdwa v0, v38, v14 dst_sel:DWORD dst_unused:UNUSED_PAD src0_sel:DWORD src1_sel:WORD_0
	v_lshrrev_b16 v30, 9, v1
	s_waitcnt lgkmcnt(0)
	v_lshrrev_b32_e32 v24, 17, v3
	s_barrier
	buffer_gl0_inv
	v_mul_lo_u16 v1, v30, 3
	s_clause 0x1
	global_load_dwordx4 v[103:106], v0, s[12:13]
	global_load_dwordx4 v[111:114], v0, s[12:13] offset:16
	v_mul_lo_u16 v0, v24, 3
	v_and_b32_e32 v46, 0xff, v57
	v_sub_nc_u16 v33, v90, v1
	v_lshlrev_b32_sdwa v2, v38, v21 dst_sel:DWORD dst_unused:UNUSED_PAD src0_sel:DWORD src1_sel:WORD_0
	v_add_nc_u32_e32 v60, 0x271, v90
	v_sub_nc_u16 v25, v59, v0
	v_mul_lo_u16 v0, 0xab, v46
	v_lshlrev_b32_sdwa v1, v38, v33 dst_sel:DWORD dst_unused:UNUSED_PAD src0_sel:DWORD src1_sel:BYTE_0
	s_clause 0x1
	global_load_dwordx4 v[26:29], v2, s[12:13]
	global_load_dwordx4 v[107:110], v2, s[12:13] offset:16
	v_mul_u32_u24_e32 v20, 60, v20
	v_lshrrev_b16 v31, 9, v0
	s_clause 0x1
	global_load_dwordx4 v[115:118], v1, s[12:13]
	global_load_dwordx4 v[119:122], v1, s[12:13] offset:16
	v_lshlrev_b32_sdwa v1, v38, v25 dst_sel:DWORD dst_unused:UNUSED_PAD src0_sel:DWORD src1_sel:WORD_0
	v_mul_u32_u24_e32 v15, 60, v15
	v_mul_lo_u16 v0, v31, 3
	v_mul_lo_u16 v39, 0x89, v39
	v_cmp_gt_u32_e64 s0, 0x4b, v90
	global_load_dwordx4 v[123:126], v1, s[12:13]
	v_mul_u32_u24_sdwa v2, v60, v36 dst_sel:DWORD dst_unused:UNUSED_PAD src0_sel:WORD_0 src1_sel:DWORD
	v_sub_nc_u16 v32, v57, v0
	v_lshrrev_b32_e32 v22, 17, v2
	v_lshlrev_b32_sdwa v0, v38, v32 dst_sel:DWORD dst_unused:UNUSED_PAD src0_sel:DWORD src1_sel:BYTE_0
	s_clause 0x1
	global_load_dwordx4 v[127:130], v0, s[12:13]
	global_load_dwordx4 v[131:134], v0, s[12:13] offset:16
	v_mul_lo_u16 v0, v22, 3
	v_sub_nc_u16 v23, v60, v0
	v_lshlrev_b32_sdwa v0, v38, v23 dst_sel:DWORD dst_unused:UNUSED_PAD src0_sel:DWORD src1_sel:WORD_0
	s_clause 0x2
	global_load_dwordx4 v[135:138], v0, s[12:13]
	global_load_dwordx4 v[139:142], v1, s[12:13] offset:16
	global_load_dwordx4 v[0:3], v0, s[12:13] offset:16
	ds_read2_b32 v[36:37], v94 offset0:104 offset1:229
	ds_read2_b32 v[40:41], v97 offset0:86 offset1:211
	;; [unrolled: 1-line block ×12, first 2 shown]
	s_waitcnt vmcnt(11)
	v_mul_f32_e32 v63, v87, v104
	v_mul_f32_e32 v64, v85, v106
	s_waitcnt vmcnt(10) lgkmcnt(9)
	v_mul_f32_e32 v89, v73, v112
	v_mul_f32_e32 v67, v41, v106
	;; [unrolled: 1-line block ×3, first 2 shown]
	v_fmac_f32_e32 v63, v37, v103
	v_fmac_f32_e32 v64, v41, v105
	v_mul_f32_e32 v61, v81, v114
	v_fma_f32 v67, v85, v105, -v67
	v_fmac_f32_e32 v62, v73, v111
	s_waitcnt vmcnt(9)
	v_mul_f32_e32 v47, v36, v27
	v_mul_f32_e32 v69, v86, v27
	;; [unrolled: 1-line block ×5, first 2 shown]
	v_fma_f32 v76, v86, v26, -v47
	v_fmac_f32_e32 v69, v36, v26
	s_waitcnt vmcnt(7) lgkmcnt(6)
	v_mul_f32_e32 v26, v147, v118
	v_mul_f32_e32 v71, v82, v108
	v_fma_f32 v75, v84, v28, -v27
	v_mul_f32_e32 v84, v52, v118
	v_fma_f32 v66, v87, v103, -v29
	s_waitcnt vmcnt(6) lgkmcnt(4)
	v_mul_f32_e32 v29, v151, v122
	s_waitcnt vmcnt(5) lgkmcnt(3)
	v_mul_f32_e32 v36, v153, v124
	s_waitcnt lgkmcnt(2)
	v_mul_f32_e32 v37, v155, v126
	v_fma_f32 v26, v52, v117, -v26
	v_mul_f32_e32 v77, v72, v108
	v_mul_f32_e32 v104, v144, v114
	v_fmac_f32_e32 v70, v40, v28
	v_mul_f32_e32 v28, v149, v120
	v_mul_f32_e32 v87, v48, v122
	v_fmac_f32_e32 v71, v72, v107
	v_fma_f32 v72, v83, v111, -v89
	s_waitcnt vmcnt(4)
	v_mul_f32_e32 v52, v148, v130
	v_mul_f32_e32 v41, v146, v128
	v_fma_f32 v29, v48, v121, -v29
	v_mul_f32_e32 v83, v53, v130
	s_waitcnt vmcnt(3)
	v_mul_f32_e32 v48, v150, v132
	v_fma_f32 v103, v53, v129, -v52
	v_fma_f32 v53, v44, v123, -v36
	;; [unrolled: 1-line block ×3, first 2 shown]
	v_mul_f32_e32 v79, v143, v110
	v_mul_f32_e32 v106, v145, v116
	v_mul_f32_e32 v88, v54, v116
	v_mul_f32_e32 v86, v50, v120
	v_mul_f32_e32 v40, v44, v124
	v_mul_f32_e32 v47, v42, v126
	v_fma_f32 v73, v81, v113, -v104
	s_waitcnt vmcnt(2)
	v_mul_f32_e32 v36, v154, v136
	v_mul_f32_e32 v37, v156, v138
	v_fma_f32 v28, v50, v119, -v28
	v_mul_f32_e32 v50, v152, v134
	v_fma_f32 v85, v55, v127, -v41
	v_fma_f32 v104, v51, v131, -v48
	v_mul_f32_e32 v41, v45, v136
	v_mul_f32_e32 v44, v43, v138
	s_waitcnt vmcnt(1) lgkmcnt(1)
	v_mul_f32_e32 v42, v157, v140
	v_fma_f32 v48, v45, v135, -v36
	v_fma_f32 v45, v43, v137, -v37
	s_waitcnt vmcnt(0)
	v_mul_f32_e32 v36, v158, v1
	v_mul_f32_e32 v43, v35, v1
	;; [unrolled: 1-line block ×3, first 2 shown]
	v_fma_f32 v79, v80, v109, -v79
	v_fma_f32 v27, v54, v115, -v106
	v_fmac_f32_e32 v88, v145, v115
	v_fmac_f32_e32 v87, v151, v121
	v_mul_f32_e32 v81, v51, v132
	v_mul_f32_e32 v80, v49, v134
	v_fma_f32 v89, v49, v133, -v50
	v_fma_f32 v54, v34, v139, -v42
	v_mul_f32_e32 v51, v34, v140
	s_waitcnt lgkmcnt(0)
	v_mul_f32_e32 v34, v12, v142
	v_mul_f32_e32 v50, v10, v142
	v_fma_f32 v49, v35, v0, -v36
	v_fmac_f32_e32 v43, v158, v0
	v_add_f32_e32 v0, v26, v28
	v_fma_f32 v77, v82, v107, -v77
	v_fmac_f32_e32 v84, v147, v117
	v_mul_f32_e32 v82, v55, v128
	v_fmac_f32_e32 v86, v149, v119
	v_fma_f32 v55, v10, v141, -v34
	v_fmac_f32_e32 v50, v12, v141
	v_add_f32_e32 v10, v8, v27
	v_fma_f32 v12, -0.5, v0, v8
	v_sub_f32_e32 v34, v88, v87
	v_mul_f32_e32 v1, v13, v3
	v_mul_f32_e32 v105, v11, v3
	v_sub_f32_e32 v3, v27, v26
	v_sub_f32_e32 v0, v29, v28
	v_mov_b32_e32 v42, 2
	v_mov_b32_e32 v35, 60
	v_add_f32_e32 v10, v10, v26
	v_fmamk_f32 v36, v34, 0x3f737871, v12
	v_sub_f32_e32 v37, v84, v86
	v_fmac_f32_e32 v65, v143, v109
	v_add_f32_e32 v109, v3, v0
	v_lshlrev_b32_sdwa v0, v42, v33 dst_sel:DWORD dst_unused:UNUSED_PAD src0_sel:DWORD src1_sel:BYTE_0
	v_mul_u32_u24_sdwa v3, v30, v35 dst_sel:DWORD dst_unused:UNUSED_PAD src0_sel:WORD_0 src1_sel:DWORD
	v_add_f32_e32 v10, v10, v28
	v_fmac_f32_e32 v36, 0x3f167918, v37
	v_fma_f32 v106, v11, v2, -v1
	v_fmac_f32_e32 v105, v13, v2
	v_add3_u32 v110, 0, v3, v0
	v_add_f32_e32 v10, v10, v29
	v_fmac_f32_e32 v36, 0x3e9e377a, v109
	v_add_f32_e32 v11, v27, v29
	v_sub_f32_e32 v13, v26, v27
	v_sub_f32_e32 v30, v28, v29
	v_fmac_f32_e32 v83, v148, v129
	v_fmac_f32_e32 v81, v150, v131
	ds_read2_b32 v[107:108], v68 offset1:125
	ds_read2_b32 v[2:3], v93 offset0:122 offset1:247
	ds_read2_b32 v[0:1], v98 offset0:116 offset1:241
	s_waitcnt lgkmcnt(0)
	s_barrier
	buffer_gl0_inv
	v_fma_f32 v8, -0.5, v11, v8
	ds_write2_b32 v110, v10, v36 offset1:3
	v_add_f32_e32 v10, v103, v104
	v_add_f32_e32 v11, v13, v30
	;; [unrolled: 1-line block ×3, first 2 shown]
	v_fmac_f32_e32 v82, v146, v127
	v_fmac_f32_e32 v80, v152, v133
	v_fmamk_f32 v30, v37, 0xbf737871, v8
	v_fmac_f32_e32 v8, 0x3f737871, v37
	v_fma_f32 v10, -0.5, v10, v9
	v_add_f32_e32 v33, v9, v85
	v_fmac_f32_e32 v9, -0.5, v13
	v_sub_f32_e32 v13, v83, v81
	v_fmac_f32_e32 v12, 0xbf737871, v34
	v_fmac_f32_e32 v61, v144, v113
	;; [unrolled: 1-line block ×3, first 2 shown]
	v_sub_f32_e32 v36, v103, v85
	v_sub_f32_e32 v111, v104, v89
	v_fmamk_f32 v112, v13, 0xbf737871, v9
	v_sub_f32_e32 v113, v82, v80
	v_fmac_f32_e32 v8, 0xbf167918, v34
	v_fmac_f32_e32 v9, 0x3f737871, v13
	;; [unrolled: 1-line block ×3, first 2 shown]
	v_add_f32_e32 v34, v36, v111
	v_fmac_f32_e32 v112, 0x3f167918, v113
	v_fmac_f32_e32 v30, 0x3e9e377a, v11
	;; [unrolled: 1-line block ×4, first 2 shown]
	v_mul_u32_u24_sdwa v11, v31, v35 dst_sel:DWORD dst_unused:UNUSED_PAD src0_sel:WORD_0 src1_sel:DWORD
	v_lshlrev_b32_sdwa v31, v42, v32 dst_sel:DWORD dst_unused:UNUSED_PAD src0_sel:DWORD src1_sel:BYTE_0
	v_sub_f32_e32 v32, v85, v103
	v_sub_f32_e32 v35, v89, v104
	v_add_f32_e32 v33, v33, v103
	v_fmamk_f32 v36, v113, 0x3f737871, v10
	v_fmac_f32_e32 v12, 0x3e9e377a, v109
	v_fmac_f32_e32 v112, 0x3e9e377a, v34
	;; [unrolled: 1-line block ×3, first 2 shown]
	v_add3_u32 v109, 0, v11, v31
	v_add_f32_e32 v11, v32, v35
	v_add_f32_e32 v31, v33, v104
	v_fmac_f32_e32 v36, 0x3f167918, v13
	ds_write2_b32 v110, v30, v8 offset0:6 offset1:9
	ds_write_b32 v110, v12 offset:48
	ds_write2_b32 v109, v112, v9 offset0:6 offset1:9
	v_add_f32_e32 v9, v75, v77
	v_fmac_f32_e32 v10, 0xbf737871, v113
	v_add_f32_e32 v8, v31, v89
	v_fmac_f32_e32 v36, 0x3e9e377a, v11
	v_sub_f32_e32 v12, v76, v75
	v_sub_f32_e32 v30, v79, v77
	v_add_f32_e32 v31, v6, v76
	v_fma_f32 v9, -0.5, v9, v6
	v_sub_f32_e32 v32, v69, v65
	ds_write2_b32 v109, v8, v36 offset1:3
	v_fmac_f32_e32 v10, 0xbf167918, v13
	v_add_f32_e32 v8, v12, v30
	v_add_f32_e32 v12, v31, v75
	v_fmamk_f32 v13, v32, 0x3f737871, v9
	v_sub_f32_e32 v30, v70, v71
	v_lshlrev_b32_sdwa v21, v42, v21 dst_sel:DWORD dst_unused:UNUSED_PAD src0_sel:DWORD src1_sel:WORD_0
	v_add_f32_e32 v31, v76, v79
	v_add_f32_e32 v12, v12, v77
	v_fmac_f32_e32 v10, 0x3e9e377a, v11
	v_fmac_f32_e32 v13, 0x3f167918, v30
	v_add3_u32 v111, 0, v20, v21
	v_sub_f32_e32 v20, v77, v79
	v_add_f32_e32 v11, v12, v79
	v_sub_f32_e32 v12, v75, v76
	v_fmac_f32_e32 v13, 0x3e9e377a, v8
	v_fma_f32 v6, -0.5, v31, v6
	ds_write_b32 v109, v10 offset:48
	v_fmac_f32_e32 v9, 0xbf737871, v32
	v_sub_f32_e32 v21, v67, v66
	ds_write2_b32 v111, v11, v13 offset1:3
	v_add_f32_e32 v11, v12, v20
	v_add_f32_e32 v12, v67, v72
	;; [unrolled: 1-line block ×3, first 2 shown]
	v_fmamk_f32 v10, v30, 0xbf737871, v6
	v_fmac_f32_e32 v6, 0x3f737871, v30
	v_add_f32_e32 v20, v7, v66
	v_fma_f32 v12, -0.5, v12, v7
	v_fmac_f32_e32 v7, -0.5, v13
	v_sub_f32_e32 v13, v64, v62
	v_fmac_f32_e32 v10, 0x3f167918, v32
	v_fmac_f32_e32 v6, 0xbf167918, v32
	;; [unrolled: 1-line block ×3, first 2 shown]
	v_sub_f32_e32 v30, v72, v73
	v_sub_f32_e32 v32, v63, v61
	v_fmamk_f32 v31, v13, 0xbf737871, v7
	v_fmac_f32_e32 v7, 0x3f737871, v13
	v_fmac_f32_e32 v10, 0x3e9e377a, v11
	;; [unrolled: 1-line block ×4, first 2 shown]
	v_add_f32_e32 v8, v21, v30
	v_sub_f32_e32 v11, v66, v67
	v_sub_f32_e32 v21, v73, v72
	v_add_f32_e32 v20, v20, v67
	v_fmamk_f32 v30, v32, 0x3f737871, v12
	v_fmac_f32_e32 v31, 0x3f167918, v32
	v_fmac_f32_e32 v7, 0xbf167918, v32
	v_lshlrev_b32_sdwa v14, v42, v14 dst_sel:DWORD dst_unused:UNUSED_PAD src0_sel:DWORD src1_sel:WORD_0
	v_add_f32_e32 v11, v11, v21
	v_add_f32_e32 v20, v20, v72
	v_fmac_f32_e32 v30, 0x3f167918, v13
	v_fmac_f32_e32 v40, v153, v123
	;; [unrolled: 1-line block ×4, first 2 shown]
	v_add3_u32 v112, 0, v15, v14
	ds_write2_b32 v111, v10, v6 offset0:6 offset1:9
	ds_write_b32 v111, v9 offset:48
	v_add_f32_e32 v6, v52, v54
	v_add_f32_e32 v8, v20, v73
	v_fmac_f32_e32 v30, 0x3e9e377a, v11
	v_fmac_f32_e32 v47, v155, v125
	;; [unrolled: 1-line block ×3, first 2 shown]
	ds_write2_b32 v112, v31, v7 offset0:6 offset1:9
	ds_write2_b32 v112, v8, v30 offset1:3
	v_fmac_f32_e32 v12, 0xbf737871, v32
	v_add_f32_e32 v7, v4, v53
	v_fma_f32 v6, -0.5, v6, v4
	v_sub_f32_e32 v8, v40, v50
	v_sub_f32_e32 v9, v53, v52
	;; [unrolled: 1-line block ×3, first 2 shown]
	v_fmac_f32_e32 v12, 0xbf167918, v13
	v_add_f32_e32 v7, v7, v52
	v_fmamk_f32 v13, v8, 0x3f737871, v6
	v_sub_f32_e32 v14, v47, v51
	v_add_f32_e32 v9, v9, v10
	v_lshlrev_b32_sdwa v10, v42, v25 dst_sel:DWORD dst_unused:UNUSED_PAD src0_sel:DWORD src1_sel:WORD_0
	v_mul_u32_u24_e32 v15, 60, v24
	v_add_f32_e32 v7, v7, v54
	v_fmac_f32_e32 v13, 0x3f167918, v14
	v_add_f32_e32 v20, v53, v55
	v_fmac_f32_e32 v12, 0x3e9e377a, v11
	v_add3_u32 v114, 0, v15, v10
	v_sub_f32_e32 v10, v52, v53
	v_sub_f32_e32 v11, v54, v55
	v_fmac_f32_e32 v44, v156, v137
	v_add_f32_e32 v7, v7, v55
	v_fmac_f32_e32 v13, 0x3e9e377a, v9
	v_fma_f32 v4, -0.5, v20, v4
	ds_write_b32 v112, v12 offset:48
	v_add_f32_e32 v12, v45, v49
	v_add_f32_e32 v10, v10, v11
	;; [unrolled: 1-line block ×3, first 2 shown]
	v_fmac_f32_e32 v41, v154, v135
	ds_write2_b32 v114, v7, v13 offset1:3
	v_fmamk_f32 v7, v14, 0xbf737871, v4
	v_fmac_f32_e32 v4, 0x3f737871, v14
	v_fma_f32 v12, -0.5, v12, v5
	v_add_f32_e32 v13, v5, v48
	v_fmac_f32_e32 v5, -0.5, v11
	v_sub_f32_e32 v11, v44, v43
	v_fmac_f32_e32 v7, 0x3f167918, v8
	v_fmac_f32_e32 v4, 0xbf167918, v8
	;; [unrolled: 1-line block ×3, first 2 shown]
	v_sub_f32_e32 v8, v45, v48
	v_sub_f32_e32 v15, v49, v106
	v_fmamk_f32 v20, v11, 0xbf737871, v5
	v_sub_f32_e32 v21, v41, v105
	v_fmac_f32_e32 v5, 0x3f737871, v11
	v_fmac_f32_e32 v7, 0x3e9e377a, v10
	;; [unrolled: 1-line block ×4, first 2 shown]
	v_add_f32_e32 v8, v8, v15
	v_fmac_f32_e32 v20, 0x3f167918, v21
	v_fmac_f32_e32 v5, 0xbf167918, v21
	ds_write2_b32 v114, v7, v4 offset0:6 offset1:9
	v_fmac_f32_e32 v6, 0x3e9e377a, v9
	v_sub_f32_e32 v7, v48, v45
	v_fmac_f32_e32 v20, 0x3e9e377a, v8
	v_fmac_f32_e32 v5, 0x3e9e377a, v8
	v_sub_f32_e32 v8, v106, v49
	v_lshlrev_b32_sdwa v10, v42, v23 dst_sel:DWORD dst_unused:UNUSED_PAD src0_sel:DWORD src1_sel:WORD_0
	v_mul_u32_u24_e32 v14, 60, v22
	ds_write_b32 v114, v6 offset:48
	v_fmamk_f32 v9, v21, 0x3f737871, v12
	v_add_f32_e32 v6, v7, v8
	v_add_f32_e32 v7, v84, v86
	v_add3_u32 v115, 0, v14, v10
	v_fmac_f32_e32 v12, 0xbf737871, v21
	v_add_f32_e32 v8, v107, v88
	v_sub_f32_e32 v10, v87, v86
	v_fma_f32 v116, -0.5, v7, v107
	v_sub_f32_e32 v7, v88, v84
	v_fmac_f32_e32 v9, 0x3f167918, v11
	v_fmac_f32_e32 v12, 0xbf167918, v11
	v_add_f32_e32 v8, v8, v84
	v_sub_f32_e32 v113, v27, v29
	v_add_f32_e32 v119, v7, v10
	v_add_f32_e32 v10, v88, v87
	v_sub_f32_e32 v117, v26, v28
	v_fmac_f32_e32 v9, 0x3e9e377a, v6
	v_fmac_f32_e32 v12, 0x3e9e377a, v6
	v_add_f32_e32 v6, v8, v86
	v_fma_f32 v107, -0.5, v10, v107
	v_fmamk_f32 v118, v113, 0xbf737871, v116
	v_add_f32_e32 v4, v13, v45
	v_sub_f32_e32 v84, v84, v88
	v_add_f32_e32 v120, v6, v87
	v_sub_f32_e32 v86, v86, v87
	v_fmamk_f32 v87, v117, 0x3f737871, v107
	v_fmac_f32_e32 v107, 0xbf737871, v117
	v_fmac_f32_e32 v118, 0xbf167918, v117
	v_add_f32_e32 v4, v4, v49
	v_add_f32_e32 v84, v84, v86
	v_fmac_f32_e32 v87, 0xbf167918, v113
	v_add_f32_e32 v86, v83, v81
	v_fmac_f32_e32 v107, 0x3f167918, v113
	;; [unrolled: 2-line block ×3, first 2 shown]
	v_sub_f32_e32 v103, v103, v104
	v_add_f32_e32 v104, v108, v82
	v_add_f32_e32 v4, v4, v106
	v_fmac_f32_e32 v87, 0x3e9e377a, v84
	v_fma_f32 v86, -0.5, v86, v108
	v_fmac_f32_e32 v108, -0.5, v88
	v_fmac_f32_e32 v107, 0x3e9e377a, v84
	ds_write2_b32 v115, v20, v5 offset0:6 offset1:9
	ds_write2_b32 v115, v4, v9 offset1:3
	ds_write_b32 v115, v12 offset:48
	s_waitcnt lgkmcnt(0)
	s_barrier
	buffer_gl0_inv
	ds_read2_b32 v[8:9], v68 offset1:125
	ds_read2_b32 v[36:37], v91 offset0:110 offset1:235
	ds_read2_b32 v[34:35], v92 offset0:92 offset1:217
	;; [unrolled: 1-line block ×14, first 2 shown]
	s_waitcnt lgkmcnt(0)
	s_barrier
	buffer_gl0_inv
	v_fmac_f32_e32 v116, 0x3f737871, v113
	v_sub_f32_e32 v88, v83, v82
	v_sub_f32_e32 v113, v81, v80
	;; [unrolled: 1-line block ×3, first 2 shown]
	ds_write2_b32 v110, v120, v118 offset1:3
	ds_write2_b32 v110, v87, v107 offset0:6 offset1:9
	v_add_f32_e32 v87, v104, v83
	v_fmamk_f32 v89, v103, 0x3f737871, v108
	v_fmac_f32_e32 v108, 0xbf737871, v103
	v_add_f32_e32 v84, v88, v113
	v_sub_f32_e32 v82, v82, v83
	v_sub_f32_e32 v83, v80, v81
	v_fmamk_f32 v88, v85, 0xbf737871, v86
	v_fmac_f32_e32 v86, 0x3f737871, v85
	v_add_f32_e32 v81, v87, v81
	v_fmac_f32_e32 v89, 0xbf167918, v85
	v_fmac_f32_e32 v108, 0x3f167918, v85
	v_add_f32_e32 v82, v82, v83
	v_fmac_f32_e32 v88, 0xbf167918, v103
	v_fmac_f32_e32 v86, 0x3f167918, v103
	v_add_f32_e32 v80, v81, v80
	v_add_f32_e32 v81, v70, v71
	v_fmac_f32_e32 v89, 0x3e9e377a, v84
	v_fmac_f32_e32 v108, 0x3e9e377a, v84
	v_sub_f32_e32 v76, v76, v79
	v_add_f32_e32 v79, v2, v69
	v_add_f32_e32 v84, v69, v65
	v_fmac_f32_e32 v88, 0x3e9e377a, v82
	v_fmac_f32_e32 v86, 0x3e9e377a, v82
	v_sub_f32_e32 v82, v69, v70
	v_sub_f32_e32 v83, v65, v71
	v_fma_f32 v81, -0.5, v81, v2
	v_add_f32_e32 v79, v79, v70
	v_sub_f32_e32 v75, v75, v77
	v_fma_f32 v2, -0.5, v84, v2
	v_add_f32_e32 v77, v82, v83
	v_fmamk_f32 v82, v76, 0xbf737871, v81
	v_add_f32_e32 v79, v79, v71
	v_sub_f32_e32 v69, v70, v69
	v_sub_f32_e32 v70, v71, v65
	v_fmamk_f32 v71, v75, 0x3f737871, v2
	v_fmac_f32_e32 v2, 0xbf737871, v75
	v_fmac_f32_e32 v116, 0x3f167918, v117
	;; [unrolled: 1-line block ×3, first 2 shown]
	v_add_f32_e32 v69, v69, v70
	v_fmac_f32_e32 v71, 0xbf167918, v76
	v_fmac_f32_e32 v2, 0x3f167918, v76
	;; [unrolled: 1-line block ×3, first 2 shown]
	v_add_f32_e32 v65, v79, v65
	v_fmac_f32_e32 v82, 0x3e9e377a, v77
	v_fmac_f32_e32 v71, 0x3e9e377a, v69
	;; [unrolled: 1-line block ×3, first 2 shown]
	ds_write_b32 v110, v116 offset:48
	ds_write2_b32 v109, v89, v108 offset0:6 offset1:9
	ds_write2_b32 v109, v80, v88 offset1:3
	ds_write_b32 v109, v86 offset:48
	ds_write2_b32 v111, v65, v82 offset1:3
	ds_write2_b32 v111, v71, v2 offset0:6 offset1:9
	v_add_f32_e32 v2, v64, v62
	v_add_f32_e32 v70, v63, v61
	;; [unrolled: 1-line block ×3, first 2 shown]
	v_sub_f32_e32 v67, v67, v72
	v_sub_f32_e32 v65, v66, v73
	v_fma_f32 v2, -0.5, v2, v3
	v_fmac_f32_e32 v3, -0.5, v70
	v_add_f32_e32 v70, v71, v64
	v_sub_f32_e32 v66, v63, v64
	v_sub_f32_e32 v63, v64, v63
	;; [unrolled: 1-line block ×3, first 2 shown]
	v_fmamk_f32 v71, v67, 0x3f737871, v3
	v_fmac_f32_e32 v3, 0xbf737871, v67
	v_sub_f32_e32 v69, v61, v62
	v_add_f32_e32 v62, v70, v62
	v_add_f32_e32 v63, v63, v64
	v_fmac_f32_e32 v71, 0xbf167918, v65
	v_fmac_f32_e32 v3, 0x3f167918, v65
	v_add_f32_e32 v66, v66, v69
	v_fmamk_f32 v69, v65, 0xbf737871, v2
	v_fmac_f32_e32 v2, 0x3f737871, v65
	v_add_f32_e32 v61, v62, v61
	v_add_f32_e32 v62, v47, v51
	;; [unrolled: 1-line block ×3, first 2 shown]
	v_fmac_f32_e32 v71, 0x3e9e377a, v63
	v_fmac_f32_e32 v3, 0x3e9e377a, v63
	v_sub_f32_e32 v53, v53, v55
	v_sub_f32_e32 v55, v40, v47
	;; [unrolled: 1-line block ×3, first 2 shown]
	v_add_f32_e32 v64, v0, v40
	v_fma_f32 v62, -0.5, v62, v0
	v_sub_f32_e32 v52, v52, v54
	v_fma_f32 v0, -0.5, v65, v0
	v_add_f32_e32 v54, v55, v63
	v_add_f32_e32 v63, v64, v47
	v_sub_f32_e32 v40, v47, v40
	v_sub_f32_e32 v47, v51, v50
	v_fmamk_f32 v64, v52, 0x3f737871, v0
	v_fmac_f32_e32 v0, 0xbf737871, v52
	v_add_f32_e32 v51, v63, v51
	v_fmac_f32_e32 v81, 0x3f737871, v76
	v_add_f32_e32 v40, v40, v47
	v_fmac_f32_e32 v64, 0xbf167918, v53
	v_fmac_f32_e32 v0, 0x3f167918, v53
	v_add_f32_e32 v47, v51, v50
	v_add_f32_e32 v50, v1, v41
	v_fmamk_f32 v55, v53, 0xbf737871, v62
	v_fmac_f32_e32 v62, 0x3f737871, v53
	v_fmac_f32_e32 v64, 0x3e9e377a, v40
	;; [unrolled: 1-line block ×3, first 2 shown]
	v_sub_f32_e32 v40, v48, v106
	v_add_f32_e32 v48, v44, v43
	v_add_f32_e32 v50, v50, v44
	;; [unrolled: 1-line block ×3, first 2 shown]
	v_fmac_f32_e32 v81, 0x3f167918, v75
	v_fmac_f32_e32 v69, 0xbf167918, v67
	;; [unrolled: 1-line block ×4, first 2 shown]
	v_sub_f32_e32 v51, v41, v44
	v_sub_f32_e32 v52, v105, v43
	v_fma_f32 v48, -0.5, v48, v1
	v_sub_f32_e32 v45, v45, v49
	v_add_f32_e32 v49, v50, v43
	v_fmac_f32_e32 v1, -0.5, v53
	v_fmac_f32_e32 v81, 0x3e9e377a, v77
	v_fmac_f32_e32 v69, 0x3e9e377a, v66
	v_add_f32_e32 v50, v51, v52
	v_fmamk_f32 v51, v40, 0xbf737871, v48
	v_sub_f32_e32 v41, v44, v41
	v_add_f32_e32 v44, v49, v105
	v_sub_f32_e32 v43, v43, v105
	v_fmamk_f32 v49, v45, 0x3f737871, v1
	v_fmac_f32_e32 v1, 0xbf737871, v45
	ds_write_b32 v111, v81 offset:48
	v_fmac_f32_e32 v2, 0x3f167918, v67
	v_lshrrev_b16 v109, 11, v39
	ds_write2_b32 v112, v61, v69 offset1:3
	ds_write2_b32 v112, v71, v3 offset0:6 offset1:9
	v_mul_lo_u16 v3, 0x89, v46
	v_fmac_f32_e32 v51, 0xbf167918, v45
	v_add_f32_e32 v41, v41, v43
	v_fmac_f32_e32 v49, 0xbf167918, v40
	v_fmac_f32_e32 v1, 0x3f167918, v40
	;; [unrolled: 1-line block ×5, first 2 shown]
	v_mul_lo_u16 v39, v109, 15
	v_lshrrev_b16 v107, 11, v3
	v_fmac_f32_e32 v55, 0x3e9e377a, v54
	v_fmac_f32_e32 v51, 0x3e9e377a, v50
	;; [unrolled: 1-line block ×5, first 2 shown]
	ds_write_b32 v112, v2 offset:48
	ds_write2_b32 v114, v47, v55 offset1:3
	v_sub_nc_u16 v113, v90, v39
	ds_write2_b32 v114, v64, v0 offset0:6 offset1:9
	ds_write_b32 v114, v62 offset:48
	ds_write2_b32 v115, v44, v51 offset1:3
	ds_write2_b32 v115, v49, v1 offset0:6 offset1:9
	v_mul_lo_u16 v1, v107, 15
	v_fmac_f32_e32 v48, 0x3e9e377a, v50
	v_lshlrev_b32_sdwa v0, v38, v113 dst_sel:DWORD dst_unused:UNUSED_PAD src0_sel:DWORD src1_sel:BYTE_0
	v_sub_nc_u16 v108, v57, v1
	v_mov_b32_e32 v1, 0x8889
	ds_write_b32 v115, v48 offset:48
	s_waitcnt lgkmcnt(0)
	s_barrier
	buffer_gl0_inv
	s_clause 0x1
	global_load_dwordx4 v[47:50], v0, s[12:13] offset:96
	global_load_dwordx4 v[61:64], v0, s[12:13] offset:112
	v_lshlrev_b32_sdwa v2, v38, v108 dst_sel:DWORD dst_unused:UNUSED_PAD src0_sel:DWORD src1_sel:BYTE_0
	v_mul_u32_u24_sdwa v3, v56, v1 dst_sel:DWORD dst_unused:UNUSED_PAD src0_sel:WORD_0 src1_sel:DWORD
	v_mul_u32_u24_sdwa v0, v58, v1 dst_sel:DWORD dst_unused:UNUSED_PAD src0_sel:WORD_0 src1_sel:DWORD
	s_clause 0x1
	global_load_dwordx4 v[51:54], v2, s[12:13] offset:96
	global_load_dwordx4 v[69:72], v2, s[12:13] offset:112
	v_lshrrev_b32_e32 v110, 19, v3
	v_lshrrev_b32_e32 v41, 19, v0
	v_mul_lo_u16 v3, v110, 15
	v_mul_lo_u16 v0, v41, 15
	v_sub_nc_u16 v112, v56, v3
	v_sub_nc_u16 v106, v58, v0
	v_mul_u32_u24_sdwa v3, v59, v1 dst_sel:DWORD dst_unused:UNUSED_PAD src0_sel:WORD_0 src1_sel:DWORD
	v_mul_u32_u24_sdwa v1, v60, v1 dst_sel:DWORD dst_unused:UNUSED_PAD src0_sel:WORD_0 src1_sel:DWORD
	v_lshlrev_b32_sdwa v2, v38, v112 dst_sel:DWORD dst_unused:UNUSED_PAD src0_sel:DWORD src1_sel:WORD_0
	v_lshlrev_b32_sdwa v0, v38, v106 dst_sel:DWORD dst_unused:UNUSED_PAD src0_sel:DWORD src1_sel:WORD_0
	v_lshrrev_b32_e32 v105, 19, v3
	v_lshrrev_b32_e32 v39, 19, v1
	s_clause 0x3
	global_load_dwordx4 v[114:117], v2, s[12:13] offset:96
	global_load_dwordx4 v[122:125], v2, s[12:13] offset:112
	;; [unrolled: 1-line block ×4, first 2 shown]
	v_mul_lo_u16 v2, v105, 15
	v_mul_lo_u16 v0, v39, 15
	v_sub_nc_u16 v111, v59, v2
	v_sub_nc_u16 v40, v60, v0
	v_lshlrev_b32_sdwa v1, v38, v111 dst_sel:DWORD dst_unused:UNUSED_PAD src0_sel:DWORD src1_sel:WORD_0
	v_lshlrev_b32_sdwa v0, v38, v40 dst_sel:DWORD dst_unused:UNUSED_PAD src0_sel:DWORD src1_sel:WORD_0
	s_clause 0x3
	global_load_dwordx4 v[130:133], v1, s[12:13] offset:96
	global_load_dwordx4 v[134:137], v0, s[12:13] offset:96
	;; [unrolled: 1-line block ×4, first 2 shown]
	ds_read2_b32 v[43:44], v91 offset0:110 offset1:235
	ds_read2_b32 v[65:66], v92 offset0:92 offset1:217
	;; [unrolled: 1-line block ×4, first 2 shown]
	s_waitcnt vmcnt(11) lgkmcnt(3)
	v_mul_f32_e32 v38, v43, v48
	v_mul_f32_e32 v86, v36, v48
	s_waitcnt lgkmcnt(2)
	v_mul_f32_e32 v45, v65, v50
	v_mul_f32_e32 v87, v34, v50
	s_waitcnt vmcnt(10)
	v_mul_f32_e32 v103, v32, v62
	v_fma_f32 v36, v36, v47, -v38
	v_fmac_f32_e32 v86, v43, v47
	s_waitcnt vmcnt(9)
	v_mul_f32_e32 v38, v44, v52
	ds_read2_b32 v[47:48], v94 offset0:104 offset1:229
	v_mul_f32_e32 v76, v37, v52
	v_mul_f32_e32 v43, v66, v54
	v_fma_f32 v34, v34, v49, -v45
	v_fma_f32 v83, v37, v51, -v38
	ds_read2_b32 v[37:38], v97 offset0:86 offset1:211
	v_fmac_f32_e32 v87, v65, v49
	v_mul_f32_e32 v77, v35, v54
	v_fmac_f32_e32 v76, v44, v51
	v_fma_f32 v84, v35, v53, -v43
	s_waitcnt lgkmcnt(3)
	v_mul_f32_e32 v35, v79, v62
	s_waitcnt lgkmcnt(2)
	v_mul_f32_e32 v43, v142, v64
	s_waitcnt vmcnt(8)
	v_mul_f32_e32 v44, v80, v70
	ds_read2_b32 v[49:50], v96 offset0:50 offset1:175
	v_mul_f32_e32 v104, v30, v64
	v_fma_f32 v32, v32, v61, -v35
	v_fma_f32 v30, v30, v63, -v43
	;; [unrolled: 1-line block ×3, first 2 shown]
	v_mul_f32_e32 v82, v33, v70
	ds_read2_b32 v[43:44], v95 offset0:68 offset1:193
	v_fmac_f32_e32 v103, v79, v61
	s_waitcnt vmcnt(7) lgkmcnt(3)
	v_mul_f32_e32 v35, v47, v115
	v_mul_f32_e32 v33, v143, v72
	;; [unrolled: 1-line block ×3, first 2 shown]
	v_fmac_f32_e32 v82, v80, v69
	v_mul_f32_e32 v69, v28, v115
	v_fma_f32 v81, v28, v114, -v35
	s_waitcnt lgkmcnt(2)
	v_mul_f32_e32 v28, v37, v117
	v_fma_f32 v89, v31, v71, -v33
	v_fmac_f32_e32 v79, v143, v71
	v_mul_f32_e32 v71, v24, v117
	s_waitcnt vmcnt(5)
	v_mul_f32_e32 v31, v48, v119
	v_fmac_f32_e32 v69, v47, v114
	v_fma_f32 v73, v24, v116, -v28
	v_mul_f32_e32 v24, v38, v121
	ds_read2_b32 v[114:115], v101 offset0:80 offset1:205
	v_mul_f32_e32 v52, v29, v119
	v_fma_f32 v64, v29, v118, -v31
	ds_read2_b32 v[28:29], v100 offset0:98 offset1:223
	v_fma_f32 v65, v25, v120, -v24
	s_waitcnt lgkmcnt(3)
	v_mul_f32_e32 v24, v49, v125
	v_mul_f32_e32 v55, v25, v121
	s_waitcnt lgkmcnt(2)
	v_mul_f32_e32 v31, v43, v123
	v_mul_f32_e32 v72, v22, v123
	;; [unrolled: 1-line block ×3, first 2 shown]
	v_fma_f32 v85, v26, v124, -v24
	ds_read2_b32 v[24:25], v102 offset0:62 offset1:187
	v_fma_f32 v80, v22, v122, -v31
	s_waitcnt vmcnt(4)
	v_mul_f32_e32 v22, v44, v127
	v_mul_f32_e32 v26, v50, v129
	;; [unrolled: 1-line block ×4, first 2 shown]
	v_fmac_f32_e32 v77, v66, v53
	v_fma_f32 v67, v23, v126, -v22
	v_fma_f32 v70, v27, v128, -v26
	ds_read2_b32 v[22:23], v99 offset0:44 offset1:169
	s_waitcnt vmcnt(3) lgkmcnt(3)
	v_mul_f32_e32 v27, v114, v133
	v_fmac_f32_e32 v75, v49, v124
	v_mul_f32_e32 v49, v14, v133
	s_waitcnt lgkmcnt(2)
	v_mul_f32_e32 v26, v28, v131
	v_fmac_f32_e32 v104, v142, v63
	v_fma_f32 v53, v14, v132, -v27
	s_waitcnt vmcnt(2)
	v_mul_f32_e32 v14, v29, v135
	v_fmac_f32_e32 v52, v48, v118
	v_mul_f32_e32 v48, v20, v131
	v_fma_f32 v54, v20, v130, -v26
	v_mul_f32_e32 v20, v21, v135
	v_fma_f32 v45, v21, v134, -v14
	s_waitcnt vmcnt(1) lgkmcnt(1)
	v_mul_f32_e32 v14, v24, v139
	s_waitcnt vmcnt(0)
	v_mul_f32_e32 v21, v13, v1
	v_fmac_f32_e32 v62, v50, v128
	v_fmac_f32_e32 v49, v114, v132
	v_mul_f32_e32 v26, v115, v137
	v_fma_f32 v63, v12, v138, -v14
	v_mul_f32_e32 v14, v25, v1
	v_add_f32_e32 v1, v34, v32
	v_mul_f32_e32 v51, v12, v139
	s_waitcnt lgkmcnt(0)
	v_mul_f32_e32 v12, v22, v141
	v_mul_f32_e32 v50, v10, v141
	v_fma_f32 v47, v13, v0, -v14
	v_fmac_f32_e32 v21, v25, v0
	v_mul_f32_e32 v0, v23, v3
	v_mul_f32_e32 v114, v11, v3
	v_add_f32_e32 v3, v8, v36
	v_fma_f32 v1, -0.5, v1, v8
	v_sub_f32_e32 v14, v86, v104
	v_fmac_f32_e32 v72, v43, v122
	v_fmac_f32_e32 v61, v44, v126
	v_mul_f32_e32 v43, v15, v137
	v_fma_f32 v44, v15, v136, -v26
	v_fmac_f32_e32 v51, v24, v138
	v_fma_f32 v66, v10, v140, -v12
	v_fmac_f32_e32 v50, v22, v140
	v_sub_f32_e32 v10, v36, v34
	v_sub_f32_e32 v12, v30, v32
	v_mov_b32_e32 v15, 0x12c
	v_add_f32_e32 v3, v3, v34
	v_fmamk_f32 v22, v14, 0x3f737871, v1
	v_sub_f32_e32 v24, v87, v103
	v_add_f32_e32 v25, v10, v12
	v_lshlrev_b32_sdwa v10, v42, v113 dst_sel:DWORD dst_unused:UNUSED_PAD src0_sel:DWORD src1_sel:BYTE_0
	v_mul_u32_u24_sdwa v12, v109, v15 dst_sel:DWORD dst_unused:UNUSED_PAD src0_sel:WORD_0 src1_sel:DWORD
	v_add_f32_e32 v3, v3, v32
	v_fmac_f32_e32 v22, 0x3f167918, v24
	v_fma_f32 v109, v11, v2, -v0
	v_fmac_f32_e32 v114, v23, v2
	v_add3_u32 v113, 0, v12, v10
	v_add_f32_e32 v0, v3, v30
	v_fmac_f32_e32 v22, 0x3e9e377a, v25
	v_add_f32_e32 v2, v36, v30
	v_fmac_f32_e32 v71, v37, v116
	v_fmac_f32_e32 v43, v115, v136
	ds_read2_b32 v[115:116], v68 offset1:125
	ds_read2_b32 v[12:13], v93 offset0:122 offset1:247
	ds_read2_b32 v[10:11], v98 offset0:116 offset1:241
	s_waitcnt lgkmcnt(0)
	s_barrier
	v_sub_f32_e32 v3, v34, v36
	v_sub_f32_e32 v23, v32, v30
	buffer_gl0_inv
	v_fma_f32 v2, -0.5, v2, v8
	ds_write2_b32 v113, v0, v22 offset1:15
	v_add_f32_e32 v0, v84, v88
	v_add_f32_e32 v8, v83, v89
	;; [unrolled: 1-line block ×3, first 2 shown]
	v_fmamk_f32 v22, v24, 0xbf737871, v2
	v_fmac_f32_e32 v2, 0x3f737871, v24
	v_fma_f32 v0, -0.5, v0, v9
	v_add_f32_e32 v23, v9, v83
	v_fmac_f32_e32 v9, -0.5, v8
	v_sub_f32_e32 v8, v77, v82
	v_fmac_f32_e32 v1, 0xbf737871, v14
	v_fmac_f32_e32 v48, v28, v130
	;; [unrolled: 1-line block ×4, first 2 shown]
	v_sub_f32_e32 v26, v84, v83
	v_sub_f32_e32 v27, v88, v89
	v_fmamk_f32 v28, v8, 0xbf737871, v9
	v_sub_f32_e32 v29, v76, v79
	v_fmac_f32_e32 v2, 0xbf167918, v14
	v_fmac_f32_e32 v9, 0x3f737871, v8
	;; [unrolled: 1-line block ×3, first 2 shown]
	v_add_f32_e32 v14, v26, v27
	v_fmac_f32_e32 v28, 0x3f167918, v29
	v_fmac_f32_e32 v22, 0x3e9e377a, v3
	;; [unrolled: 1-line block ×4, first 2 shown]
	v_mul_u32_u24_sdwa v3, v107, v15 dst_sel:DWORD dst_unused:UNUSED_PAD src0_sel:WORD_0 src1_sel:DWORD
	v_lshlrev_b32_sdwa v15, v42, v108 dst_sel:DWORD dst_unused:UNUSED_PAD src0_sel:DWORD src1_sel:BYTE_0
	v_fmac_f32_e32 v1, 0x3e9e377a, v25
	v_sub_f32_e32 v24, v83, v84
	v_sub_f32_e32 v25, v89, v88
	v_add_f32_e32 v23, v23, v84
	v_fmamk_f32 v26, v29, 0x3f737871, v0
	v_fmac_f32_e32 v28, 0x3e9e377a, v14
	v_fmac_f32_e32 v9, 0x3e9e377a, v14
	v_add3_u32 v108, 0, v3, v15
	v_add_f32_e32 v3, v24, v25
	v_add_f32_e32 v14, v23, v88
	v_fmac_f32_e32 v26, 0x3f167918, v8
	ds_write2_b32 v113, v22, v2 offset0:30 offset1:45
	ds_write_b32 v113, v1 offset:240
	ds_write2_b32 v108, v28, v9 offset0:30 offset1:45
	v_add_f32_e32 v2, v73, v80
	v_fmac_f32_e32 v0, 0xbf737871, v29
	v_add_f32_e32 v1, v14, v89
	v_fmac_f32_e32 v26, 0x3e9e377a, v3
	v_sub_f32_e32 v9, v81, v73
	v_sub_f32_e32 v14, v85, v80
	v_add_f32_e32 v15, v6, v81
	v_fma_f32 v2, -0.5, v2, v6
	v_sub_f32_e32 v22, v69, v75
	ds_write2_b32 v108, v1, v26 offset1:15
	v_fmac_f32_e32 v0, 0xbf167918, v8
	v_add_f32_e32 v1, v9, v14
	v_add_f32_e32 v8, v15, v73
	v_fmamk_f32 v9, v22, 0x3f737871, v2
	v_sub_f32_e32 v14, v71, v72
	v_lshlrev_b32_sdwa v15, v42, v112 dst_sel:DWORD dst_unused:UNUSED_PAD src0_sel:DWORD src1_sel:WORD_0
	v_mul_u32_u24_e32 v23, 0x12c, v110
	v_add_f32_e32 v8, v8, v80
	v_add_f32_e32 v24, v81, v85
	v_fmac_f32_e32 v9, 0x3f167918, v14
	v_fmac_f32_e32 v0, 0x3e9e377a, v3
	v_add3_u32 v107, 0, v23, v15
	v_add_f32_e32 v3, v8, v85
	v_sub_f32_e32 v8, v73, v81
	v_fmac_f32_e32 v9, 0x3e9e377a, v1
	v_sub_f32_e32 v15, v80, v85
	v_fma_f32 v6, -0.5, v24, v6
	v_fmac_f32_e32 v55, v38, v120
	ds_write_b32 v108, v0 offset:240
	ds_write2_b32 v107, v3, v9 offset1:15
	v_add_f32_e32 v3, v8, v15
	v_add_f32_e32 v8, v65, v67
	;; [unrolled: 1-line block ×3, first 2 shown]
	v_fmamk_f32 v0, v14, 0xbf737871, v6
	v_fmac_f32_e32 v6, 0x3f737871, v14
	v_fmac_f32_e32 v2, 0xbf737871, v22
	v_fma_f32 v8, -0.5, v8, v7
	v_add_f32_e32 v15, v7, v64
	v_fmac_f32_e32 v7, -0.5, v9
	v_sub_f32_e32 v9, v55, v61
	v_fmac_f32_e32 v0, 0x3f167918, v22
	v_fmac_f32_e32 v6, 0xbf167918, v22
	;; [unrolled: 1-line block ×3, first 2 shown]
	v_sub_f32_e32 v14, v65, v64
	v_sub_f32_e32 v22, v67, v70
	;; [unrolled: 1-line block ×3, first 2 shown]
	v_fmamk_f32 v23, v9, 0xbf737871, v7
	v_fmac_f32_e32 v7, 0x3f737871, v9
	v_fmac_f32_e32 v0, 0x3e9e377a, v3
	;; [unrolled: 1-line block ×4, first 2 shown]
	v_add_f32_e32 v1, v14, v22
	v_sub_f32_e32 v3, v64, v65
	v_sub_f32_e32 v14, v70, v67
	v_add_f32_e32 v15, v15, v65
	v_fmamk_f32 v22, v24, 0x3f737871, v8
	v_fmac_f32_e32 v23, 0x3f167918, v24
	v_fmac_f32_e32 v7, 0xbf167918, v24
	v_lshlrev_b32_sdwa v25, v42, v106 dst_sel:DWORD dst_unused:UNUSED_PAD src0_sel:DWORD src1_sel:WORD_0
	v_mul_u32_u24_e32 v26, 0x12c, v41
	v_add_f32_e32 v3, v3, v14
	v_add_f32_e32 v14, v15, v67
	v_fmac_f32_e32 v22, 0x3f167918, v9
	v_fmac_f32_e32 v23, 0x3e9e377a, v1
	;; [unrolled: 1-line block ×3, first 2 shown]
	v_add3_u32 v106, 0, v26, v25
	ds_write2_b32 v107, v0, v6 offset0:30 offset1:45
	ds_write_b32 v107, v2 offset:240
	v_add_f32_e32 v0, v53, v63
	v_add_f32_e32 v1, v14, v70
	v_fmac_f32_e32 v22, 0x3e9e377a, v3
	ds_write2_b32 v106, v23, v7 offset0:30 offset1:45
	ds_write2_b32 v106, v1, v22 offset1:15
	v_fmac_f32_e32 v8, 0xbf737871, v24
	v_add_f32_e32 v1, v4, v54
	v_fma_f32 v0, -0.5, v0, v4
	v_sub_f32_e32 v2, v48, v50
	v_sub_f32_e32 v6, v54, v53
	;; [unrolled: 1-line block ×3, first 2 shown]
	v_fmac_f32_e32 v8, 0xbf167918, v9
	v_add_f32_e32 v1, v1, v53
	v_fmamk_f32 v9, v2, 0x3f737871, v0
	v_sub_f32_e32 v14, v49, v51
	v_add_f32_e32 v6, v6, v7
	v_lshlrev_b32_sdwa v7, v42, v111 dst_sel:DWORD dst_unused:UNUSED_PAD src0_sel:DWORD src1_sel:WORD_0
	v_mul_u32_u24_e32 v15, 0x12c, v105
	v_add_f32_e32 v22, v54, v66
	v_add_f32_e32 v1, v1, v63
	v_fmac_f32_e32 v9, 0x3f167918, v14
	v_fmac_f32_e32 v8, 0x3e9e377a, v3
	v_add3_u32 v105, 0, v15, v7
	v_fma_f32 v3, -0.5, v22, v4
	v_sub_f32_e32 v4, v53, v54
	v_sub_f32_e32 v7, v63, v66
	v_add_f32_e32 v1, v1, v66
	v_fmac_f32_e32 v9, 0x3e9e377a, v6
	ds_write_b32 v106, v8 offset:240
	v_add_f32_e32 v8, v44, v47
	v_add_f32_e32 v4, v4, v7
	;; [unrolled: 1-line block ×3, first 2 shown]
	ds_write2_b32 v105, v1, v9 offset1:15
	v_fmamk_f32 v1, v14, 0xbf737871, v3
	v_fmac_f32_e32 v3, 0x3f737871, v14
	v_fma_f32 v8, -0.5, v8, v5
	v_add_f32_e32 v9, v5, v45
	v_fmac_f32_e32 v5, -0.5, v7
	v_sub_f32_e32 v7, v43, v21
	v_fmac_f32_e32 v1, 0x3f167918, v2
	v_fmac_f32_e32 v3, 0xbf167918, v2
	;; [unrolled: 1-line block ×3, first 2 shown]
	v_sub_f32_e32 v2, v44, v45
	v_sub_f32_e32 v15, v47, v109
	v_fmamk_f32 v22, v7, 0xbf737871, v5
	v_sub_f32_e32 v23, v20, v114
	v_fmac_f32_e32 v5, 0x3f737871, v7
	v_fmac_f32_e32 v1, 0x3e9e377a, v4
	;; [unrolled: 1-line block ×4, first 2 shown]
	v_add_f32_e32 v2, v2, v15
	v_fmac_f32_e32 v22, 0x3f167918, v23
	v_fmac_f32_e32 v5, 0xbf167918, v23
	ds_write2_b32 v105, v1, v3 offset0:30 offset1:45
	v_fmac_f32_e32 v0, 0x3e9e377a, v6
	v_add_f32_e32 v1, v9, v44
	v_fmac_f32_e32 v22, 0x3e9e377a, v2
	v_fmac_f32_e32 v5, 0x3e9e377a, v2
	v_sub_f32_e32 v2, v45, v44
	v_sub_f32_e32 v3, v109, v47
	v_fmamk_f32 v6, v23, 0x3f737871, v8
	v_fmac_f32_e32 v8, 0xbf737871, v23
	v_lshlrev_b32_sdwa v4, v42, v40 dst_sel:DWORD dst_unused:UNUSED_PAD src0_sel:DWORD src1_sel:WORD_0
	v_mul_u32_u24_e32 v14, 0x12c, v39
	ds_write_b32 v105, v0 offset:240
	v_add_f32_e32 v0, v1, v47
	v_add_f32_e32 v1, v2, v3
	v_fmac_f32_e32 v6, 0x3f167918, v7
	v_fmac_f32_e32 v8, 0xbf167918, v7
	v_add3_u32 v4, 0, v14, v4
	v_add_f32_e32 v0, v0, v109
	v_add_f32_e32 v2, v87, v103
	v_fmac_f32_e32 v6, 0x3e9e377a, v1
	v_fmac_f32_e32 v8, 0x3e9e377a, v1
	v_add_f32_e32 v3, v115, v86
	ds_write2_b32 v4, v22, v5 offset0:30 offset1:45
	ds_write2_b32 v4, v0, v6 offset1:15
	ds_write_b32 v4, v8 offset:240
	v_add_f32_e32 v6, v86, v104
	v_sub_f32_e32 v110, v36, v30
	v_fma_f32 v111, -0.5, v2, v115
	v_sub_f32_e32 v112, v34, v32
	v_add_f32_e32 v3, v3, v87
	v_fma_f32 v115, -0.5, v6, v115
	v_sub_f32_e32 v2, v86, v87
	v_sub_f32_e32 v7, v104, v103
	v_fmamk_f32 v117, v110, 0xbf737871, v111
	v_sub_f32_e32 v86, v87, v86
	v_sub_f32_e32 v87, v103, v104
	v_add_f32_e32 v1, v3, v103
	v_fmamk_f32 v103, v112, 0x3f737871, v115
	v_fmac_f32_e32 v115, 0xbf737871, v112
	v_add_f32_e32 v118, v2, v7
	v_fmac_f32_e32 v117, 0xbf167918, v112
	v_add_f32_e32 v86, v86, v87
	v_add_f32_e32 v87, v77, v82
	v_fmac_f32_e32 v103, 0xbf167918, v110
	v_fmac_f32_e32 v115, 0x3f167918, v110
	v_add_f32_e32 v5, v1, v104
	v_fmac_f32_e32 v117, 0x3e9e377a, v118
	v_add_f32_e32 v104, v76, v79
	v_sub_f32_e32 v84, v84, v88
	v_fma_f32 v87, -0.5, v87, v116
	v_add_f32_e32 v88, v116, v76
	v_sub_f32_e32 v83, v83, v89
	v_fmac_f32_e32 v103, 0x3e9e377a, v86
	v_fmac_f32_e32 v115, 0x3e9e377a, v86
	s_waitcnt lgkmcnt(0)
	s_barrier
	buffer_gl0_inv
	ds_read2_b32 v[0:1], v68 offset1:125
	ds_read2_b32 v[2:3], v93 offset0:122 offset1:247
	ds_read2_b32 v[38:39], v91 offset0:110 offset1:235
	;; [unrolled: 1-line block ×14, first 2 shown]
	s_waitcnt lgkmcnt(0)
	s_barrier
	buffer_gl0_inv
	v_fmac_f32_e32 v116, -0.5, v104
	v_sub_f32_e32 v104, v77, v76
	ds_write2_b32 v113, v5, v117 offset1:15
	ds_write2_b32 v113, v103, v115 offset0:30 offset1:45
	v_add_f32_e32 v5, v88, v77
	v_sub_f32_e32 v76, v76, v77
	v_sub_f32_e32 v77, v79, v82
	v_fmamk_f32 v88, v83, 0xbf737871, v87
	v_fmac_f32_e32 v87, 0x3f737871, v83
	v_fmamk_f32 v89, v84, 0x3f737871, v116
	v_fmac_f32_e32 v116, 0xbf737871, v84
	v_add_f32_e32 v5, v5, v82
	v_add_f32_e32 v76, v76, v77
	v_fmac_f32_e32 v88, 0xbf167918, v84
	v_fmac_f32_e32 v87, 0x3f167918, v84
	v_add_f32_e32 v77, v71, v72
	v_fmac_f32_e32 v111, 0x3f737871, v110
	v_sub_f32_e32 v110, v82, v79
	v_add_f32_e32 v82, v69, v75
	v_fmac_f32_e32 v89, 0xbf167918, v83
	v_fmac_f32_e32 v116, 0x3f167918, v83
	v_add_f32_e32 v5, v5, v79
	v_fmac_f32_e32 v88, 0x3e9e377a, v76
	v_fmac_f32_e32 v87, 0x3e9e377a, v76
	v_sub_f32_e32 v76, v81, v85
	v_sub_f32_e32 v79, v69, v71
	;; [unrolled: 1-line block ×3, first 2 shown]
	v_add_f32_e32 v83, v12, v69
	v_fma_f32 v77, -0.5, v77, v12
	v_sub_f32_e32 v73, v73, v80
	v_fma_f32 v12, -0.5, v82, v12
	v_add_f32_e32 v79, v79, v81
	v_add_f32_e32 v80, v83, v71
	v_fmamk_f32 v81, v76, 0xbf737871, v77
	v_sub_f32_e32 v69, v71, v69
	v_sub_f32_e32 v71, v72, v75
	v_fmamk_f32 v82, v73, 0x3f737871, v12
	v_fmac_f32_e32 v12, 0xbf737871, v73
	v_fmac_f32_e32 v111, 0x3f167918, v112
	v_add_f32_e32 v86, v104, v110
	v_add_f32_e32 v72, v80, v72
	v_fmac_f32_e32 v81, 0xbf167918, v73
	v_add_f32_e32 v69, v69, v71
	v_fmac_f32_e32 v82, 0xbf167918, v76
	v_fmac_f32_e32 v12, 0x3f167918, v76
	;; [unrolled: 1-line block ×5, first 2 shown]
	v_add_f32_e32 v71, v72, v75
	v_fmac_f32_e32 v81, 0x3e9e377a, v79
	v_fmac_f32_e32 v82, 0x3e9e377a, v69
	;; [unrolled: 1-line block ×3, first 2 shown]
	ds_write_b32 v113, v111 offset:240
	ds_write2_b32 v108, v89, v116 offset0:30 offset1:45
	ds_write2_b32 v108, v5, v88 offset1:15
	v_add_f32_e32 v5, v55, v61
	ds_write_b32 v108, v87 offset:240
	ds_write2_b32 v107, v71, v81 offset1:15
	ds_write2_b32 v107, v82, v12 offset0:30 offset1:45
	v_sub_f32_e32 v12, v64, v70
	v_sub_f32_e32 v64, v52, v55
	v_sub_f32_e32 v69, v62, v61
	v_add_f32_e32 v70, v52, v62
	v_add_f32_e32 v71, v13, v52
	v_fma_f32 v5, -0.5, v5, v13
	v_sub_f32_e32 v65, v65, v67
	v_add_f32_e32 v64, v64, v69
	v_fmac_f32_e32 v13, -0.5, v70
	v_add_f32_e32 v69, v71, v55
	v_fmamk_f32 v67, v12, 0xbf737871, v5
	v_fmac_f32_e32 v5, 0x3f737871, v12
	v_sub_f32_e32 v52, v55, v52
	v_sub_f32_e32 v55, v61, v62
	v_fmamk_f32 v70, v65, 0x3f737871, v13
	v_fmac_f32_e32 v13, 0xbf737871, v65
	v_add_f32_e32 v61, v69, v61
	v_fmac_f32_e32 v67, 0xbf167918, v65
	v_fmac_f32_e32 v5, 0x3f167918, v65
	;; [unrolled: 1-line block ×4, first 2 shown]
	v_add_f32_e32 v12, v61, v62
	v_add_f32_e32 v62, v10, v48
	;; [unrolled: 1-line block ×3, first 2 shown]
	v_fmac_f32_e32 v67, 0x3e9e377a, v64
	v_fmac_f32_e32 v5, 0x3e9e377a, v64
	v_add_f32_e32 v55, v49, v51
	v_add_f32_e32 v64, v48, v50
	;; [unrolled: 1-line block ×3, first 2 shown]
	v_sub_f32_e32 v53, v53, v63
	v_fmac_f32_e32 v70, 0x3e9e377a, v52
	v_fma_f32 v55, -0.5, v55, v10
	v_fma_f32 v10, -0.5, v64, v10
	v_fmac_f32_e32 v13, 0x3e9e377a, v52
	v_sub_f32_e32 v52, v54, v66
	v_sub_f32_e32 v54, v48, v49
	v_sub_f32_e32 v61, v50, v51
	v_sub_f32_e32 v48, v49, v48
	v_sub_f32_e32 v49, v51, v50
	v_add_f32_e32 v51, v62, v51
	v_fmamk_f32 v63, v53, 0x3f737871, v10
	v_fmac_f32_e32 v10, 0xbf737871, v53
	v_add_f32_e32 v54, v54, v61
	v_fmamk_f32 v61, v52, 0xbf737871, v55
	v_fmac_f32_e32 v55, 0x3f737871, v52
	v_add_f32_e32 v48, v48, v49
	v_add_f32_e32 v49, v51, v50
	;; [unrolled: 1-line block ×3, first 2 shown]
	v_fmac_f32_e32 v63, 0xbf167918, v52
	v_fmac_f32_e32 v10, 0x3f167918, v52
	;; [unrolled: 1-line block ×4, first 2 shown]
	v_fma_f32 v52, -0.5, v50, v11
	v_add_f32_e32 v50, v20, v114
	v_add_f32_e32 v53, v11, v20
	v_fmac_f32_e32 v63, 0x3e9e377a, v48
	v_fmac_f32_e32 v10, 0x3e9e377a, v48
	v_sub_f32_e32 v45, v45, v109
	v_sub_f32_e32 v48, v20, v43
	;; [unrolled: 1-line block ×3, first 2 shown]
	v_fmac_f32_e32 v11, -0.5, v50
	v_add_f32_e32 v50, v53, v43
	v_sub_f32_e32 v20, v43, v20
	v_sub_f32_e32 v43, v21, v114
	;; [unrolled: 1-line block ×3, first 2 shown]
	v_add_f32_e32 v47, v48, v51
	v_fmamk_f32 v48, v45, 0xbf737871, v52
	v_fmac_f32_e32 v52, 0x3f737871, v45
	v_fmac_f32_e32 v77, 0x3f737871, v76
	v_add_f32_e32 v21, v50, v21
	v_add_f32_e32 v20, v20, v43
	v_mov_b32_e32 v43, 0xb4e9
	v_fmac_f32_e32 v48, 0xbf167918, v44
	v_fmamk_f32 v53, v44, 0x3f737871, v11
	v_fmac_f32_e32 v11, 0xbf737871, v44
	v_fmac_f32_e32 v52, 0x3f167918, v44
	v_add_nc_u32_e32 v44, 0xffffffb5, v90
	v_fmac_f32_e32 v77, 0x3f167918, v73
	v_add_f32_e32 v50, v21, v114
	v_mul_u32_u24_sdwa v21, v56, v43 dst_sel:DWORD dst_unused:UNUSED_PAD src0_sel:WORD_0 src1_sel:DWORD
	v_fmac_f32_e32 v53, 0xbf167918, v45
	v_cndmask_b32_e64 v51, v44, v90, s0
	v_mul_lo_u16 v44, 0xdb, v46
	v_fmac_f32_e32 v77, 0x3e9e377a, v79
	v_lshrrev_b32_e32 v43, 16, v21
	v_fmac_f32_e32 v11, 0x3f167918, v45
	v_fmac_f32_e32 v61, 0x3e9e377a, v54
	v_lshrrev_b16 v45, 14, v44
	ds_write_b32 v107, v77 offset:240
	ds_write2_b32 v106, v12, v67 offset1:15
	v_sub_nc_u16 v12, v56, v43
	v_fmac_f32_e32 v55, 0x3e9e377a, v54
	v_fmac_f32_e32 v48, 0x3e9e377a, v47
	v_fmac_f32_e32 v53, 0x3e9e377a, v20
	v_fmac_f32_e32 v11, 0x3e9e377a, v20
	v_mul_i32_i24_e32 v20, 9, v51
	v_mov_b32_e32 v21, 0
	ds_write2_b32 v106, v70, v13 offset0:30 offset1:45
	ds_write_b32 v106, v5 offset:240
	ds_write2_b32 v105, v63, v10 offset0:30 offset1:45
	v_mul_lo_u16 v10, 0x4b, v45
	v_lshrrev_b16 v5, 1, v12
	v_fmac_f32_e32 v52, 0x3e9e377a, v47
	ds_write2_b32 v105, v49, v61 offset1:15
	v_lshlrev_b64 v[12:13], 3, v[20:21]
	ds_write_b32 v105, v55 offset:240
	ds_write2_b32 v4, v50, v48 offset1:15
	ds_write2_b32 v4, v53, v11 offset0:30 offset1:45
	v_sub_nc_u16 v50, v57, v10
	v_mov_b32_e32 v20, 9
	v_add_nc_u16 v5, v5, v43
	ds_write_b32 v4, v52 offset:240
	v_add_co_u32 v10, s0, s12, v12
	v_mul_u32_u24_sdwa v4, v50, v20 dst_sel:DWORD dst_unused:UNUSED_PAD src0_sel:BYTE_0 src1_sel:DWORD
	v_lshrrev_b16 v43, 6, v5
	v_add_co_ci_u32_e64 v11, s0, s13, v13, s0
	s_waitcnt lgkmcnt(0)
	v_lshlrev_b32_e32 v4, 3, v4
	v_mul_lo_u16 v5, 0x4b, v43
	s_barrier
	buffer_gl0_inv
	s_clause 0x1
	global_load_dwordx4 v[52:55], v[10:11], off offset:576
	global_load_dwordx4 v[79:82], v4, s[12:13] offset:576
	v_sub_nc_u16 v44, v56, v5
	v_cmp_lt_u32_e64 s0, 0x4a, v90
	v_lshlrev_b32_e32 v51, 2, v51
	v_mul_u32_u24_sdwa v5, v44, v20 dst_sel:DWORD dst_unused:UNUSED_PAD src0_sel:WORD_0 src1_sel:DWORD
	v_lshlrev_b32_e32 v5, 3, v5
	s_clause 0xc
	global_load_dwordx4 v[83:86], v5, s[12:13] offset:576
	global_load_dwordx4 v[103:106], v[10:11], off offset:592
	global_load_dwordx4 v[107:110], v4, s[12:13] offset:592
	global_load_dwordx4 v[111:114], v5, s[12:13] offset:592
	global_load_dwordx4 v[115:118], v[10:11], off offset:608
	global_load_dwordx4 v[119:122], v4, s[12:13] offset:608
	;; [unrolled: 3-line block ×3, first 2 shown]
	global_load_dwordx4 v[135:138], v5, s[12:13] offset:624
	global_load_dwordx2 v[87:88], v[10:11], off offset:640
	global_load_dwordx2 v[10:11], v4, s[12:13] offset:640
	global_load_dwordx2 v[12:13], v5, s[12:13] offset:640
	ds_read2_b32 v[4:5], v93 offset0:122 offset1:247
	ds_read2_b32 v[47:48], v91 offset0:110 offset1:235
	;; [unrolled: 1-line block ×5, first 2 shown]
	s_waitcnt vmcnt(14) lgkmcnt(4)
	v_mul_f32_e32 v20, v5, v53
	s_waitcnt lgkmcnt(3)
	v_mul_f32_e32 v49, v47, v55
	v_mul_f32_e32 v46, v38, v55
	s_waitcnt vmcnt(13)
	v_mul_f32_e32 v63, v39, v82
	v_mul_f32_e32 v72, v3, v53
	v_fma_f32 v71, v3, v52, -v20
	v_mul_f32_e32 v3, v48, v82
	v_fma_f32 v38, v38, v54, -v49
	v_fmac_f32_e32 v46, v47, v54
	v_fmac_f32_e32 v63, v48, v81
	v_mul_f32_e32 v54, v40, v80
	s_waitcnt vmcnt(12)
	v_mul_f32_e32 v20, v41, v84
	ds_read2_b32 v[48:49], v100 offset0:98 offset1:223
	v_fmac_f32_e32 v72, v5, v52
	v_fma_f32 v66, v39, v81, -v3
	s_waitcnt lgkmcnt(3)
	v_mul_f32_e32 v3, v61, v80
	v_mul_f32_e32 v5, v62, v84
	v_fmac_f32_e32 v54, v61, v79
	v_fmac_f32_e32 v20, v62, v83
	ds_read2_b32 v[61:62], v97 offset0:86 offset1:211
	s_waitcnt lgkmcnt(3)
	v_mul_f32_e32 v39, v64, v86
	v_fma_f32 v52, v40, v79, -v3
	ds_read2_b32 v[79:80], v74 offset0:74 offset1:199
	v_fma_f32 v5, v41, v83, -v5
	v_mul_f32_e32 v3, v34, v86
	v_fma_f32 v55, v34, v85, -v39
	s_waitcnt vmcnt(11)
	v_mul_f32_e32 v34, v65, v104
	s_waitcnt lgkmcnt(3)
	v_mul_f32_e32 v39, v75, v106
	ds_read2_b32 v[81:82], v101 offset0:80 offset1:205
	ds_read2_b32 v[83:84], v95 offset0:68 offset1:193
	v_mul_f32_e32 v40, v35, v104
	v_mul_f32_e32 v47, v32, v106
	v_fma_f32 v41, v35, v103, -v34
	v_fma_f32 v32, v32, v105, -v39
	s_waitcnt vmcnt(10)
	v_mul_f32_e32 v34, v76, v110
	s_waitcnt lgkmcnt(4)
	v_mul_f32_e32 v35, v48, v108
	v_mul_f32_e32 v39, v36, v108
	s_waitcnt vmcnt(9)
	v_mul_f32_e32 v53, v49, v112
	v_fmac_f32_e32 v3, v64, v85
	v_fmac_f32_e32 v40, v65, v103
	v_mul_f32_e32 v65, v33, v110
	v_fma_f32 v70, v33, v109, -v34
	v_fma_f32 v36, v36, v107, -v35
	v_fmac_f32_e32 v39, v48, v107
	v_fma_f32 v35, v37, v111, -v53
	v_mul_f32_e32 v34, v37, v112
	s_waitcnt lgkmcnt(3)
	v_mul_f32_e32 v37, v61, v114
	v_mul_f32_e32 v53, v28, v114
	s_waitcnt vmcnt(8)
	v_mul_f32_e32 v48, v62, v116
	v_mul_f32_e32 v33, v29, v116
	ds_read2_b32 v[85:86], v78 offset0:56 offset1:181
	ds_read2_b32 v[103:104], v102 offset0:62 offset1:187
	v_fmac_f32_e32 v65, v76, v109
	v_fma_f32 v64, v28, v113, -v37
	v_fmac_f32_e32 v53, v61, v113
	v_fma_f32 v37, v29, v115, -v48
	v_fmac_f32_e32 v33, v62, v115
	s_waitcnt lgkmcnt(4)
	v_mul_f32_e32 v28, v79, v118
	s_waitcnt vmcnt(7)
	v_mul_f32_e32 v29, v80, v122
	v_mul_f32_e32 v69, v27, v122
	;; [unrolled: 1-line block ×3, first 2 shown]
	s_waitcnt vmcnt(6)
	v_mul_f32_e32 v61, v31, v124
	v_mul_f32_e32 v62, v22, v126
	v_fmac_f32_e32 v34, v49, v111
	v_mul_f32_e32 v48, v26, v118
	v_fma_f32 v26, v26, v117, -v28
	v_fma_f32 v73, v27, v121, -v29
	v_fmac_f32_e32 v69, v80, v121
	s_waitcnt lgkmcnt(3)
	v_mul_f32_e32 v27, v81, v120
	v_mul_f32_e32 v28, v82, v124
	s_waitcnt lgkmcnt(2)
	v_mul_f32_e32 v49, v83, v126
	v_fmac_f32_e32 v76, v81, v119
	v_fmac_f32_e32 v61, v82, v123
	ds_read2_b32 v[80:81], v96 offset0:50 offset1:175
	v_fmac_f32_e32 v62, v83, v125
	ds_read2_b32 v[82:83], v99 offset0:44 offset1:169
	v_fma_f32 v29, v30, v119, -v27
	v_fma_f32 v27, v31, v123, -v28
	s_waitcnt vmcnt(5)
	v_mul_f32_e32 v28, v84, v128
	v_fma_f32 v67, v22, v125, -v49
	v_mul_f32_e32 v22, v23, v128
	s_waitcnt lgkmcnt(3)
	v_mul_f32_e32 v30, v85, v130
	v_mul_f32_e32 v49, v8, v130
	v_fma_f32 v31, v23, v127, -v28
	s_waitcnt vmcnt(4) lgkmcnt(2)
	v_mul_f32_e32 v28, v103, v132
	v_fmac_f32_e32 v22, v84, v127
	v_fma_f32 v23, v8, v129, -v30
	v_mul_f32_e32 v8, v86, v134
	v_mul_f32_e32 v77, v24, v132
	s_waitcnt vmcnt(3)
	v_mul_f32_e32 v84, v104, v136
	v_fma_f32 v30, v24, v131, -v28
	s_waitcnt vmcnt(2)
	v_mul_f32_e32 v24, v15, v88
	v_fmac_f32_e32 v47, v75, v105
	v_fmac_f32_e32 v48, v79, v117
	v_mul_f32_e32 v75, v9, v134
	v_fma_f32 v79, v9, v133, -v8
	v_fma_f32 v28, v25, v135, -v84
	v_mul_f32_e32 v8, v25, v136
	s_waitcnt lgkmcnt(1)
	v_mul_f32_e32 v25, v80, v138
	v_mul_f32_e32 v9, v14, v138
	;; [unrolled: 1-line block ×3, first 2 shown]
	v_fmac_f32_e32 v24, v81, v87
	s_waitcnt vmcnt(0) lgkmcnt(0)
	v_mul_f32_e32 v81, v83, v13
	v_fma_f32 v14, v14, v137, -v25
	v_fmac_f32_e32 v9, v80, v137
	v_fma_f32 v25, v15, v87, -v84
	v_mul_f32_e32 v80, v82, v11
	v_mul_f32_e32 v15, v6, v11
	;; [unrolled: 1-line block ×3, first 2 shown]
	v_fma_f32 v84, v7, v12, -v81
	v_fmac_f32_e32 v8, v104, v135
	v_add_f32_e32 v13, v64, v67
	v_fmac_f32_e32 v15, v82, v10
	v_fmac_f32_e32 v11, v83, v12
	v_sub_f32_e32 v81, v27, v35
	v_sub_f32_e32 v82, v28, v84
	v_fmac_f32_e32 v49, v85, v129
	v_fmac_f32_e32 v77, v103, v131
	v_fma_f32 v103, v6, v10, -v80
	v_fma_f32 v80, -0.5, v13, v2
	v_add_f32_e32 v6, v55, v14
	v_sub_f32_e32 v7, v64, v55
	v_sub_f32_e32 v10, v67, v14
	v_add_f32_e32 v12, v27, v28
	v_add_f32_e32 v13, v35, v84
	v_sub_f32_e32 v83, v61, v34
	v_sub_f32_e32 v85, v8, v11
	v_add_f32_e32 v111, v81, v82
	v_add_f32_e32 v81, v70, v73
	;; [unrolled: 1-line block ×3, first 2 shown]
	v_fmac_f32_e32 v75, v86, v133
	v_add_f32_e32 v88, v2, v55
	v_fmac_f32_e32 v2, -0.5, v6
	v_add_f32_e32 v86, v7, v10
	v_fma_f32 v6, -0.5, v12, v5
	v_add_f32_e32 v104, v5, v35
	v_add_f32_e32 v7, v61, v8
	v_fmac_f32_e32 v5, -0.5, v13
	v_add_f32_e32 v12, v34, v11
	v_sub_f32_e32 v106, v61, v8
	v_add_f32_e32 v112, v83, v85
	v_fma_f32 v113, -0.5, v81, v1
	v_add_f32_e32 v114, v1, v66
	v_fmac_f32_e32 v1, -0.5, v82
	v_add_f32_e32 v81, v29, v30
	v_add_f32_e32 v82, v36, v103
	v_sub_f32_e32 v83, v29, v36
	v_sub_f32_e32 v85, v30, v103
	v_fma_f32 v7, -0.5, v7, v20
	v_add_f32_e32 v10, v20, v34
	v_fmac_f32_e32 v20, -0.5, v12
	v_sub_f32_e32 v107, v27, v28
	v_fmamk_f32 v13, v106, 0xbf737871, v5
	v_fmac_f32_e32 v5, 0x3f737871, v106
	v_sub_f32_e32 v109, v34, v11
	v_fma_f32 v81, -0.5, v81, v52
	v_add_f32_e32 v117, v52, v36
	v_fmac_f32_e32 v52, -0.5, v82
	v_add_f32_e32 v82, v76, v77
	v_add_f32_e32 v118, v83, v85
	v_add_f32_e32 v83, v39, v15
	v_sub_f32_e32 v85, v76, v39
	v_sub_f32_e32 v119, v77, v15
	;; [unrolled: 1-line block ×4, first 2 shown]
	v_fmamk_f32 v12, v107, 0x3f737871, v20
	v_fmac_f32_e32 v20, 0xbf737871, v107
	v_sub_f32_e32 v110, v35, v84
	v_fmac_f32_e32 v5, 0xbf167918, v109
	v_fma_f32 v82, -0.5, v82, v54
	v_add_f32_e32 v87, v54, v39
	v_fmac_f32_e32 v54, -0.5, v83
	v_add_f32_e32 v119, v85, v119
	v_sub_f32_e32 v121, v29, v30
	v_fmamk_f32 v85, v120, 0xbf737871, v52
	v_fmac_f32_e32 v52, 0x3f737871, v120
	v_sub_f32_e32 v122, v39, v15
	v_fmamk_f32 v89, v105, 0xbf737871, v2
	v_fmac_f32_e32 v2, 0x3f737871, v105
	v_sub_f32_e32 v108, v3, v9
	v_fmac_f32_e32 v20, 0x3f167918, v110
	v_fmac_f32_e32 v5, 0x3e9e377a, v111
	v_sub_f32_e32 v123, v65, v69
	v_fmamk_f32 v83, v121, 0x3f737871, v54
	v_fmac_f32_e32 v54, 0xbf737871, v121
	v_sub_f32_e32 v124, v36, v103
	v_fmac_f32_e32 v52, 0xbf167918, v122
	v_fmac_f32_e32 v2, 0xbf167918, v108
	;; [unrolled: 1-line block ×3, first 2 shown]
	v_sub_f32_e32 v115, v70, v66
	v_sub_f32_e32 v116, v73, v79
	v_fmamk_f32 v125, v123, 0xbf737871, v1
	v_fmac_f32_e32 v1, 0x3f737871, v123
	v_sub_f32_e32 v126, v63, v75
	v_fmac_f32_e32 v54, 0x3f167918, v124
	v_fmac_f32_e32 v52, 0x3e9e377a, v118
	v_mul_f32_e32 v127, 0x3e9e377a, v5
	v_fmac_f32_e32 v2, 0x3e9e377a, v86
	v_add_f32_e32 v115, v115, v116
	v_fmac_f32_e32 v1, 0xbf167918, v126
	v_fmac_f32_e32 v54, 0x3e9e377a, v119
	v_mul_f32_e32 v116, 0x3e9e377a, v52
	v_fma_f32 v127, 0x3f737871, v20, -v127
	v_add_f32_e32 v128, v32, v26
	v_add_f32_e32 v129, v38, v23
	v_fmac_f32_e32 v1, 0x3e9e377a, v115
	v_fma_f32 v116, 0x3f737871, v54, -v116
	v_add_f32_e32 v130, v2, v127
	v_sub_f32_e32 v2, v2, v127
	v_fma_f32 v127, -0.5, v128, v0
	v_fma_f32 v128, -0.5, v129, v0
	v_sub_f32_e32 v129, v38, v32
	v_sub_f32_e32 v131, v23, v26
	;; [unrolled: 1-line block ×4, first 2 shown]
	v_add_f32_e32 v134, v1, v116
	v_sub_f32_e32 v116, v1, v116
	v_add_f32_e32 v129, v129, v131
	v_sub_f32_e32 v1, v40, v33
	;; [unrolled: 2-line block ×3, first 2 shown]
	v_sub_f32_e32 v145, v47, v48
	v_add_f32_e32 v133, v33, v22
	v_add_f32_e32 v136, v37, v31
	v_sub_f32_e32 v137, v41, v25
	v_add_f32_e32 v132, v1, v132
	v_add_f32_e32 v1, v71, v41
	v_sub_f32_e32 v140, v37, v31
	v_sub_f32_e32 v141, v46, v49
	;; [unrolled: 1-line block ×4, first 2 shown]
	v_add_f32_e32 v1, v1, v37
	v_add_f32_e32 v150, v41, v25
	v_fmamk_f32 v151, v145, 0xbf737871, v128
	v_fmac_f32_e32 v128, 0x3f737871, v145
	v_sub_f32_e32 v37, v37, v41
	v_add_f32_e32 v1, v1, v31
	v_add_f32_e32 v41, v40, v24
	v_fma_f32 v133, -0.5, v133, v72
	v_fma_f32 v136, -0.5, v136, v71
	v_sub_f32_e32 v143, v33, v22
	v_add_f32_e32 v147, v1, v25
	v_add_f32_e32 v148, v148, v149
	v_fmac_f32_e32 v71, -0.5, v150
	v_fmac_f32_e32 v151, 0x3f167918, v141
	v_fmac_f32_e32 v128, 0xbf167918, v141
	v_sub_f32_e32 v25, v31, v25
	v_add_f32_e32 v31, v72, v40
	v_fmac_f32_e32 v72, -0.5, v41
	v_sub_f32_e32 v138, v40, v24
	v_fmamk_f32 v139, v137, 0xbf737871, v133
	v_fmac_f32_e32 v151, 0x3e9e377a, v148
	v_fmac_f32_e32 v128, 0x3e9e377a, v148
	v_add_f32_e32 v25, v37, v25
	v_fmamk_f32 v148, v143, 0xbf737871, v71
	v_sub_f32_e32 v37, v33, v40
	v_sub_f32_e32 v40, v22, v24
	v_fmamk_f32 v149, v140, 0x3f737871, v72
	v_fmac_f32_e32 v71, 0x3f737871, v143
	v_add_f32_e32 v0, v0, v38
	v_fmamk_f32 v142, v138, 0x3f737871, v136
	v_fmac_f32_e32 v139, 0xbf167918, v140
	v_fmac_f32_e32 v136, 0xbf737871, v138
	;; [unrolled: 1-line block ×3, first 2 shown]
	v_add_f32_e32 v37, v37, v40
	v_fmac_f32_e32 v149, 0xbf167918, v137
	v_fmac_f32_e32 v71, 0xbf167918, v138
	v_add_f32_e32 v0, v0, v32
	v_fmamk_f32 v144, v141, 0x3f737871, v127
	v_fmac_f32_e32 v142, 0x3f167918, v143
	v_fmac_f32_e32 v139, 0x3e9e377a, v132
	v_fmac_f32_e32 v133, 0x3f737871, v137
	v_fmac_f32_e32 v136, 0xbf167918, v143
	v_fmac_f32_e32 v148, 0x3f167918, v138
	v_fmac_f32_e32 v72, 0x3f167918, v137
	v_fmac_f32_e32 v149, 0x3e9e377a, v37
	v_fmac_f32_e32 v71, 0x3e9e377a, v25
	v_cndmask_b32_e64 v135, 0, 0xbb8, s0
	v_add_f32_e32 v0, v0, v26
	v_fmac_f32_e32 v144, 0x3f167918, v145
	v_fmac_f32_e32 v142, 0x3e9e377a, v131
	v_mul_f32_e32 v146, 0x3f167918, v139
	v_fmac_f32_e32 v127, 0xbf737871, v141
	v_fmac_f32_e32 v133, 0x3f167918, v140
	;; [unrolled: 1-line block ×5, first 2 shown]
	v_mul_f32_e32 v25, 0x3f737871, v149
	v_mul_f32_e32 v37, 0x3e9e377a, v71
	v_add3_u32 v135, 0, v135, v51
	v_add_f32_e32 v51, v0, v23
	v_fmac_f32_e32 v144, 0x3e9e377a, v129
	v_fmac_f32_e32 v146, 0x3f4f1bbd, v142
	v_fmac_f32_e32 v127, 0xbf167918, v145
	v_fmac_f32_e32 v133, 0x3e9e377a, v132
	v_mul_f32_e32 v40, 0x3f4f1bbd, v136
	v_fmac_f32_e32 v25, 0x3e9e377a, v148
	v_fma_f32 v37, 0x3f737871, v72, -v37
	v_add_f32_e32 v152, v51, v147
	v_add_f32_e32 v41, v144, v146
	v_fmac_f32_e32 v127, 0x3e9e377a, v129
	v_fma_f32 v40, 0x3f167918, v133, -v40
	v_add_f32_e32 v131, v151, v25
	v_add_f32_e32 v132, v128, v37
	ds_read2_b32 v[0:1], v68 offset1:125
	s_waitcnt lgkmcnt(0)
	s_barrier
	buffer_gl0_inv
	ds_write2_b32 v135, v152, v41 offset1:75
	ds_write2_b32 v135, v131, v132 offset0:150 offset1:225
	v_sub_f32_e32 v41, v51, v147
	v_add_f32_e32 v51, v127, v40
	v_add_nc_u32_e32 v129, 0x400, v135
	v_add_f32_e32 v117, v117, v29
	v_sub_f32_e32 v131, v144, v146
	v_sub_f32_e32 v25, v151, v25
	v_add_nc_u32_e32 v132, 0x600, v135
	v_sub_f32_e32 v37, v128, v37
	v_sub_f32_e32 v40, v127, v40
	v_add_nc_u32_e32 v127, 0x800, v135
	ds_write2_b32 v129, v51, v41 offset0:44 offset1:119
	ds_write2_b32 v132, v131, v25 offset0:66 offset1:141
	;; [unrolled: 1-line block ×3, first 2 shown]
	v_add_f32_e32 v25, v117, v30
	v_sub_f32_e32 v29, v36, v29
	v_sub_f32_e32 v30, v103, v30
	;; [unrolled: 1-line block ×4, first 2 shown]
	v_add_f32_e32 v25, v25, v103
	v_fmamk_f32 v103, v124, 0xbf737871, v82
	v_add_f32_e32 v29, v29, v30
	v_add_f32_e32 v30, v114, v70
	v_fmamk_f32 v114, v122, 0x3f737871, v81
	v_fmac_f32_e32 v81, 0xbf737871, v122
	v_mov_b32_e32 v36, 0xbb8
	v_add_f32_e32 v39, v39, v40
	v_fmac_f32_e32 v103, 0xbf167918, v121
	v_fmac_f32_e32 v83, 0xbf167918, v124
	;; [unrolled: 1-line block ×4, first 2 shown]
	v_sub_f32_e32 v128, v66, v70
	v_sub_f32_e32 v137, v79, v73
	v_mul_u32_u24_sdwa v41, v45, v36 dst_sel:DWORD dst_unused:UNUSED_PAD src0_sel:WORD_0 src1_sel:DWORD
	v_lshlrev_b32_sdwa v45, v42, v50 dst_sel:DWORD dst_unused:UNUSED_PAD src0_sel:DWORD src1_sel:BYTE_0
	v_fmamk_f32 v50, v126, 0x3f737871, v113
	v_fmac_f32_e32 v114, 0x3f167918, v120
	v_fmac_f32_e32 v103, 0x3e9e377a, v39
	;; [unrolled: 1-line block ×7, first 2 shown]
	v_add_f32_e32 v37, v128, v137
	v_add_f32_e32 v30, v30, v73
	v_fmac_f32_e32 v50, 0x3f167918, v123
	v_fmac_f32_e32 v114, 0x3e9e377a, v29
	v_mul_f32_e32 v40, 0x3f167918, v103
	v_fmac_f32_e32 v125, 0x3f167918, v126
	v_fmac_f32_e32 v85, 0x3e9e377a, v118
	v_mul_f32_e32 v29, 0x3f737871, v83
	;; [unrolled: 3-line block ×3, first 2 shown]
	v_add_f32_e32 v30, v30, v79
	v_fmac_f32_e32 v50, 0x3e9e377a, v37
	v_fmac_f32_e32 v40, 0x3f4f1bbd, v114
	;; [unrolled: 1-line block ×4, first 2 shown]
	v_add3_u32 v117, 0, v41, v45
	v_fmac_f32_e32 v113, 0x3e9e377a, v37
	v_fma_f32 v37, 0x3f167918, v82, -v39
	v_add_f32_e32 v39, v30, v25
	v_add_f32_e32 v41, v50, v40
	;; [unrolled: 1-line block ×3, first 2 shown]
	v_sub_f32_e32 v25, v30, v25
	v_add_f32_e32 v30, v113, v37
	v_add_nc_u32_e32 v115, 0x400, v117
	ds_write2_b32 v117, v39, v41 offset1:75
	ds_write2_b32 v117, v45, v134 offset0:150 offset1:225
	ds_write2_b32 v115, v30, v25 offset0:44 offset1:119
	v_add_f32_e32 v25, v104, v27
	v_sub_f32_e32 v27, v35, v27
	v_sub_f32_e32 v40, v50, v40
	;; [unrolled: 1-line block ×3, first 2 shown]
	v_add_nc_u32_e32 v118, 0x600, v117
	v_add_f32_e32 v25, v25, v28
	v_sub_f32_e32 v28, v84, v28
	v_sub_f32_e32 v34, v34, v61
	;; [unrolled: 1-line block ×3, first 2 shown]
	v_add_f32_e32 v37, v88, v64
	v_add_f32_e32 v25, v25, v84
	;; [unrolled: 1-line block ×3, first 2 shown]
	v_mul_u32_u24_sdwa v28, v43, v36 dst_sel:DWORD dst_unused:UNUSED_PAD src0_sel:WORD_0 src1_sel:DWORD
	v_sub_f32_e32 v36, v11, v8
	v_fmamk_f32 v84, v110, 0xbf737871, v7
	v_fmamk_f32 v88, v109, 0x3f737871, v6
	v_fmac_f32_e32 v6, 0xbf737871, v109
	ds_write2_b32 v118, v40, v29 offset0:66 offset1:141
	v_sub_f32_e32 v29, v55, v64
	v_sub_f32_e32 v30, v14, v67
	v_add_f32_e32 v34, v34, v36
	v_fmac_f32_e32 v84, 0xbf167918, v107
	v_fmac_f32_e32 v12, 0xbf167918, v110
	;; [unrolled: 1-line block ×4, first 2 shown]
	v_add_f32_e32 v29, v29, v30
	v_lshlrev_b32_sdwa v30, v42, v44 dst_sel:DWORD dst_unused:UNUSED_PAD src0_sel:DWORD src1_sel:WORD_0
	v_fmamk_f32 v39, v108, 0x3f737871, v80
	v_fmac_f32_e32 v88, 0x3f167918, v106
	v_fmac_f32_e32 v84, 0x3e9e377a, v34
	;; [unrolled: 1-line block ×7, first 2 shown]
	v_add_f32_e32 v36, v37, v67
	v_fmac_f32_e32 v39, 0x3f167918, v105
	v_add3_u32 v113, 0, v28, v30
	v_fmac_f32_e32 v88, 0x3e9e377a, v27
	v_mul_f32_e32 v30, 0x3f167918, v84
	v_fmac_f32_e32 v89, 0x3f167918, v108
	v_fmac_f32_e32 v13, 0x3e9e377a, v111
	v_mul_f32_e32 v27, 0x3f737871, v12
	v_fmac_f32_e32 v80, 0xbf167918, v105
	v_fmac_f32_e32 v7, 0x3e9e377a, v34
	v_mul_f32_e32 v34, 0x3f4f1bbd, v6
	v_add_f32_e32 v28, v36, v14
	v_fmac_f32_e32 v39, 0x3e9e377a, v29
	v_fmac_f32_e32 v30, 0x3f4f1bbd, v88
	;; [unrolled: 1-line block ×5, first 2 shown]
	v_fma_f32 v29, 0x3f167918, v7, -v34
	v_add_nc_u32_e32 v104, 0x800, v117
	v_add_f32_e32 v34, v28, v25
	v_add_f32_e32 v36, v39, v30
	;; [unrolled: 1-line block ×3, first 2 shown]
	v_sub_f32_e32 v25, v28, v25
	v_add_f32_e32 v28, v80, v29
	v_add_nc_u32_e32 v86, 0x400, v113
	v_sub_f32_e32 v30, v39, v30
	v_sub_f32_e32 v27, v89, v27
	v_add_nc_u32_e32 v89, 0x600, v113
	ds_write2_b32 v104, v116, v35 offset0:88 offset1:163
	ds_write2_b32 v113, v34, v36 offset1:75
	ds_write2_b32 v113, v37, v130 offset0:150 offset1:225
	ds_write2_b32 v86, v28, v25 offset0:44 offset1:119
	;; [unrolled: 1-line block ×3, first 2 shown]
	v_add_f32_e32 v27, v47, v48
	v_add_f32_e32 v44, v46, v49
	v_sub_f32_e32 v105, v38, v23
	v_add_f32_e32 v23, v0, v46
	v_sub_f32_e32 v107, v32, v26
	v_fma_f32 v106, -0.5, v27, v0
	v_fma_f32 v0, -0.5, v44, v0
	v_sub_f32_e32 v25, v80, v29
	v_add_f32_e32 v28, v31, v33
	v_sub_f32_e32 v27, v46, v47
	v_sub_f32_e32 v29, v49, v48
	v_add_f32_e32 v23, v23, v47
	v_fmamk_f32 v108, v105, 0xbf737871, v106
	v_sub_f32_e32 v112, v47, v46
	v_sub_f32_e32 v116, v48, v49
	v_fmamk_f32 v119, v107, 0x3f737871, v0
	v_fmac_f32_e32 v0, 0xbf737871, v107
	v_fmac_f32_e32 v106, 0x3f737871, v105
	v_add_nc_u32_e32 v80, 0x800, v113
	v_add_f32_e32 v22, v28, v22
	v_add_f32_e32 v109, v27, v29
	;; [unrolled: 1-line block ×3, first 2 shown]
	v_fmac_f32_e32 v108, 0xbf167918, v107
	v_add_f32_e32 v112, v112, v116
	v_fmac_f32_e32 v0, 0x3f167918, v105
	v_mul_f32_e32 v72, 0x3e9e377a, v72
	v_fmac_f32_e32 v106, 0x3f167918, v107
	v_mul_f32_e32 v107, 0x3f4f1bbd, v133
	ds_write2_b32 v80, v2, v25 offset0:88 offset1:163
	v_add_f32_e32 v2, v22, v24
	v_add_f32_e32 v111, v23, v49
	v_fmac_f32_e32 v119, 0xbf167918, v105
	v_fmac_f32_e32 v0, 0x3e9e377a, v112
	v_fma_f32 v71, 0xbf737871, v71, -v72
	v_fmac_f32_e32 v106, 0x3e9e377a, v109
	v_fma_f32 v72, 0xbf167918, v136, -v107
	v_add_f32_e32 v116, v111, v2
	v_fmac_f32_e32 v119, 0x3e9e377a, v112
	v_add_f32_e32 v112, v0, v71
	v_sub_f32_e32 v2, v111, v2
	v_add_f32_e32 v111, v106, v72
	v_sub_f32_e32 v0, v0, v71
	v_sub_f32_e32 v71, v106, v72
	v_add_f32_e32 v72, v65, v69
	v_add_f32_e32 v76, v87, v76
	v_sub_f32_e32 v66, v66, v79
	v_add_f32_e32 v87, v1, v63
	v_mul_f32_e32 v110, 0xbf167918, v142
	v_fma_f32 v72, -0.5, v72, v1
	v_sub_f32_e32 v79, v63, v65
	v_sub_f32_e32 v106, v75, v69
	v_mul_f32_e32 v105, 0xbf737871, v148
	v_sub_f32_e32 v70, v70, v73
	v_add_f32_e32 v73, v76, v77
	v_add_f32_e32 v76, v87, v65
	v_fmamk_f32 v77, v66, 0xbf737871, v72
	v_fmac_f32_e32 v110, 0x3f4f1bbd, v139
	v_fmac_f32_e32 v108, 0x3e9e377a, v109
	v_add_f32_e32 v79, v79, v106
	v_add_f32_e32 v106, v63, v75
	v_fmac_f32_e32 v105, 0x3e9e377a, v149
	v_mul_f32_e32 v87, 0xbf167918, v114
	v_add_f32_e32 v76, v76, v69
	v_fmac_f32_e32 v77, 0xbf167918, v70
	v_add_f32_e32 v107, v108, v110
	v_fmac_f32_e32 v1, -0.5, v106
	v_add_f32_e32 v109, v119, v105
	v_add_f32_e32 v15, v73, v15
	v_fmac_f32_e32 v87, 0x3f4f1bbd, v103
	v_add_f32_e32 v73, v76, v75
	v_fmac_f32_e32 v77, 0x3e9e377a, v79
	s_waitcnt lgkmcnt(0)
	s_barrier
	buffer_gl0_inv
	ds_read2_b32 v[22:23], v68 offset1:125
	ds_read2_b32 v[24:25], v91 offset0:110 offset1:235
	ds_read2_b32 v[28:29], v92 offset0:92 offset1:217
	;; [unrolled: 1-line block ×14, first 2 shown]
	s_waitcnt lgkmcnt(0)
	s_barrier
	buffer_gl0_inv
	ds_write2_b32 v135, v116, v107 offset1:75
	ds_write2_b32 v135, v109, v112 offset0:150 offset1:225
	ds_write2_b32 v129, v111, v2 offset0:44 offset1:119
	v_sub_f32_e32 v2, v108, v110
	v_sub_f32_e32 v105, v119, v105
	;; [unrolled: 1-line block ×4, first 2 shown]
	v_fmamk_f32 v69, v70, 0x3f737871, v1
	v_fmac_f32_e32 v1, 0xbf737871, v70
	v_add_f32_e32 v75, v73, v15
	v_add_f32_e32 v76, v77, v87
	;; [unrolled: 1-line block ×3, first 2 shown]
	v_fmac_f32_e32 v69, 0xbf167918, v66
	ds_write2_b32 v132, v2, v105 offset0:66 offset1:141
	v_fmac_f32_e32 v1, 0x3f167918, v66
	ds_write2_b32 v127, v0, v71 offset0:88 offset1:163
	ds_write2_b32 v117, v75, v76 offset1:75
	v_add_f32_e32 v0, v53, v62
	v_add_f32_e32 v2, v3, v9
	v_fmac_f32_e32 v69, 0x3e9e377a, v63
	v_fmac_f32_e32 v1, 0x3e9e377a, v63
	v_mul_f32_e32 v63, 0xbf737871, v85
	v_fma_f32 v0, -0.5, v0, v4
	v_add_f32_e32 v65, v4, v3
	v_fmac_f32_e32 v4, -0.5, v2
	v_mul_f32_e32 v2, 0x3e9e377a, v54
	v_sub_f32_e32 v14, v55, v14
	v_sub_f32_e32 v54, v53, v3
	;; [unrolled: 1-line block ×3, first 2 shown]
	v_fmac_f32_e32 v63, 0x3e9e377a, v83
	v_fma_f32 v2, 0xbf737871, v52, -v2
	v_sub_f32_e32 v64, v64, v67
	v_sub_f32_e32 v3, v3, v53
	v_add_f32_e32 v52, v54, v55
	v_add_f32_e32 v54, v69, v63
	;; [unrolled: 1-line block ×3, first 2 shown]
	v_fmamk_f32 v67, v64, 0x3f737871, v4
	v_fmac_f32_e32 v4, 0xbf737871, v64
	v_mul_f32_e32 v20, 0x3e9e377a, v20
	v_fmac_f32_e32 v72, 0x3f737871, v66
	ds_write2_b32 v117, v54, v55 offset0:150 offset1:225
	v_sub_f32_e32 v54, v69, v63
	v_add_f32_e32 v63, v65, v53
	v_sub_f32_e32 v53, v9, v62
	v_fmamk_f32 v65, v14, 0xbf737871, v0
	v_fmac_f32_e32 v0, 0x3f737871, v14
	v_add_f32_e32 v10, v10, v61
	v_fmac_f32_e32 v4, 0x3f167918, v14
	v_add_f32_e32 v3, v3, v53
	v_fmac_f32_e32 v65, 0xbf167918, v64
	v_fmac_f32_e32 v0, 0x3f167918, v64
	v_fma_f32 v5, 0xbf737871, v5, -v20
	v_fmac_f32_e32 v72, 0x3f167918, v70
	v_mul_f32_e32 v20, 0x3f4f1bbd, v82
	v_add_f32_e32 v62, v63, v62
	v_add_f32_e32 v8, v10, v8
	v_fmac_f32_e32 v65, 0x3e9e377a, v3
	v_fmac_f32_e32 v0, 0x3e9e377a, v3
	v_mul_f32_e32 v3, 0xbf167918, v88
	v_fmac_f32_e32 v67, 0xbf167918, v14
	v_mul_f32_e32 v10, 0xbf737871, v13
	v_fmac_f32_e32 v4, 0x3e9e377a, v52
	v_fmac_f32_e32 v72, 0x3e9e377a, v79
	v_fma_f32 v20, 0xbf167918, v81, -v20
	v_mul_f32_e32 v7, 0x3f4f1bbd, v7
	v_add_f32_e32 v9, v62, v9
	v_add_f32_e32 v8, v8, v11
	v_fmac_f32_e32 v3, 0x3f4f1bbd, v84
	v_fmac_f32_e32 v67, 0x3e9e377a, v52
	;; [unrolled: 1-line block ×3, first 2 shown]
	v_sub_f32_e32 v1, v1, v2
	v_add_f32_e32 v2, v4, v5
	v_sub_f32_e32 v4, v4, v5
	v_sub_f32_e32 v5, v73, v15
	v_add_f32_e32 v55, v72, v20
	v_fma_f32 v6, 0xbf167918, v6, -v7
	v_sub_f32_e32 v15, v77, v87
	v_sub_f32_e32 v20, v72, v20
	v_add_f32_e32 v7, v9, v8
	v_sub_f32_e32 v8, v9, v8
	v_add_f32_e32 v9, v65, v3
	v_add_f32_e32 v11, v67, v10
	v_sub_f32_e32 v3, v65, v3
	v_sub_f32_e32 v10, v67, v10
	v_add_f32_e32 v12, v0, v6
	v_sub_f32_e32 v0, v0, v6
	ds_write2_b32 v115, v55, v5 offset0:44 offset1:119
	ds_write2_b32 v118, v15, v54 offset0:66 offset1:141
	;; [unrolled: 1-line block ×3, first 2 shown]
	ds_write2_b32 v113, v7, v9 offset1:75
	ds_write2_b32 v113, v11, v2 offset0:150 offset1:225
	ds_write2_b32 v86, v12, v8 offset0:44 offset1:119
	;; [unrolled: 1-line block ×4, first 2 shown]
	s_waitcnt lgkmcnt(0)
	s_barrier
	buffer_gl0_inv
	s_and_saveexec_b32 s0, vcc_lo
	s_cbranch_execz .LBB0_15
; %bb.14:
	v_lshlrev_b32_e32 v20, 2, v60
	v_mul_lo_u32 v73, s3, v18
	v_mul_lo_u32 v89, s2, v19
	v_lshlrev_b64 v[16:17], 3, v[16:17]
	v_lshlrev_b64 v[0:1], 3, v[20:21]
	v_lshlrev_b32_e32 v20, 2, v59
	v_lshlrev_b64 v[4:5], 3, v[20:21]
	v_add_co_u32 v2, vcc_lo, s12, v0
	v_add_co_ci_u32_e32 v3, vcc_lo, s13, v1, vcc_lo
	v_lshlrev_b32_e32 v20, 2, v58
	v_add_co_u32 v0, vcc_lo, 0x1000, v2
	v_add_co_ci_u32_e32 v1, vcc_lo, 0, v3, vcc_lo
	v_add_co_u32 v2, vcc_lo, 0x1758, v2
	v_add_co_ci_u32_e32 v3, vcc_lo, 0, v3, vcc_lo
	s_clause 0x1
	global_load_dwordx4 v[8:11], v[0:1], off offset:1880
	global_load_dwordx4 v[12:15], v[2:3], off offset:16
	v_add_co_u32 v2, vcc_lo, s12, v4
	v_add_co_ci_u32_e32 v3, vcc_lo, s13, v5, vcc_lo
	v_lshlrev_b64 v[52:53], 3, v[20:21]
	v_add_co_u32 v0, vcc_lo, 0x1000, v2
	v_add_co_ci_u32_e32 v1, vcc_lo, 0, v3, vcc_lo
	v_add_co_u32 v4, vcc_lo, 0x1758, v2
	v_add_co_ci_u32_e32 v5, vcc_lo, 0, v3, vcc_lo
	;; [unrolled: 2-line block ×3, first 2 shown]
	s_clause 0x1
	global_load_dwordx4 v[0:3], v[0:1], off offset:1880
	global_load_dwordx4 v[4:7], v[4:5], off offset:16
	v_add_co_u32 v52, vcc_lo, 0x1000, v20
	v_add_co_ci_u32_e32 v53, vcc_lo, 0, v55, vcc_lo
	v_add_co_u32 v54, vcc_lo, 0x1758, v20
	v_lshlrev_b32_e32 v20, 2, v56
	v_add_co_ci_u32_e32 v55, vcc_lo, 0, v55, vcc_lo
	s_clause 0x1
	global_load_dwordx4 v[58:61], v[52:53], off offset:1880
	global_load_dwordx4 v[62:65], v[54:55], off offset:16
	v_lshlrev_b64 v[52:53], 3, v[20:21]
	v_add_co_u32 v20, vcc_lo, s12, v52
	v_add_co_ci_u32_e32 v55, vcc_lo, s13, v53, vcc_lo
	v_add_co_u32 v52, vcc_lo, 0x1000, v20
	v_add_co_ci_u32_e32 v53, vcc_lo, 0, v55, vcc_lo
	;; [unrolled: 2-line block ×3, first 2 shown]
	s_clause 0x1
	global_load_dwordx4 v[69:72], v[52:53], off offset:1880
	global_load_dwordx4 v[79:82], v[54:55], off offset:16
	v_lshlrev_b32_e32 v20, 2, v57
	v_lshlrev_b64 v[52:53], 3, v[20:21]
	v_add_co_u32 v20, vcc_lo, s12, v52
	v_add_co_ci_u32_e32 v54, vcc_lo, s13, v53, vcc_lo
	v_add_co_u32 v52, vcc_lo, 0x1000, v20
	v_add_co_ci_u32_e32 v53, vcc_lo, 0, v54, vcc_lo
	;; [unrolled: 2-line block ×3, first 2 shown]
	global_load_dwordx4 v[54:57], v[52:53], off offset:1880
	v_lshlrev_b32_e32 v20, 2, v90
	global_load_dwordx4 v[83:86], v[66:67], off offset:16
	v_mad_u64_u32 v[52:53], null, s2, v18, 0
	v_lshlrev_b64 v[75:76], 3, v[20:21]
	ds_read2_b32 v[18:19], v101 offset0:80 offset1:205
	ds_read2_b32 v[66:67], v100 offset0:98 offset1:223
	;; [unrolled: 1-line block ×12, first 2 shown]
	v_add_co_u32 v20, vcc_lo, s12, v75
	v_add_co_ci_u32_e32 v77, vcc_lo, s13, v76, vcc_lo
	v_add3_u32 v53, v53, v89, v73
	v_add_co_u32 v75, vcc_lo, 0x1000, v20
	v_add_co_ci_u32_e32 v76, vcc_lo, 0, v77, vcc_lo
	v_add_co_u32 v91, vcc_lo, 0x1758, v20
	v_add_co_ci_u32_e32 v92, vcc_lo, 0, v77, vcc_lo
	ds_read2_b32 v[113:114], v74 offset0:74 offset1:199
	ds_read2_b32 v[77:78], v78 offset0:56 offset1:181
	s_clause 0x1
	global_load_dwordx4 v[73:76], v[75:76], off offset:1880
	global_load_dwordx4 v[91:94], v[91:92], off offset:16
	s_waitcnt vmcnt(11) lgkmcnt(13)
	v_mul_f32_e32 v20, v10, v19
	s_waitcnt lgkmcnt(12)
	v_mul_f32_e32 v89, v8, v67
	s_waitcnt vmcnt(10) lgkmcnt(11)
	v_mul_f32_e32 v115, v12, v88
	s_waitcnt lgkmcnt(10)
	v_mul_f32_e32 v116, v14, v100
	v_mul_f32_e32 v67, v9, v67
	;; [unrolled: 1-line block ×5, first 2 shown]
	v_fmac_f32_e32 v20, v47, v11
	v_fmac_f32_e32 v89, v45, v9
	;; [unrolled: 1-line block ×4, first 2 shown]
	v_fma_f32 v8, v45, v8, -v67
	v_fma_f32 v14, v51, v14, -v100
	;; [unrolled: 1-line block ×4, first 2 shown]
	s_waitcnt lgkmcnt(9)
	v_add_f32_e32 v117, v89, v102
	v_sub_f32_e32 v49, v20, v89
	s_waitcnt vmcnt(9)
	v_mul_f32_e32 v12, v2, v18
	v_mul_f32_e32 v11, v0, v66
	s_waitcnt vmcnt(8)
	v_mul_f32_e32 v45, v4, v87
	v_mul_f32_e32 v47, v6, v99
	;; [unrolled: 1-line block ×6, first 2 shown]
	v_sub_f32_e32 v66, v8, v14
	v_sub_f32_e32 v118, v9, v8
	;; [unrolled: 1-line block ×3, first 2 shown]
	v_add_f32_e32 v120, v8, v14
	v_sub_f32_e32 v122, v8, v9
	v_add_f32_e32 v124, v9, v10
	v_add_f32_e32 v8, v43, v8
	v_fmac_f32_e32 v12, v46, v3
	v_fmac_f32_e32 v11, v44, v1
	;; [unrolled: 1-line block ×4, first 2 shown]
	v_fma_f32 v5, v44, v0, -v13
	v_fma_f32 v44, v50, v6, -v15
	v_fma_f32 v15, v46, v2, -v18
	v_fma_f32 v46, v48, v4, -v19
	s_waitcnt vmcnt(7) lgkmcnt(7)
	v_mul_f32_e32 v18, v58, v104
	s_waitcnt vmcnt(6) lgkmcnt(6)
	v_mul_f32_e32 v50, v62, v106
	v_mul_f32_e32 v4, v59, v104
	;; [unrolled: 1-line block ×3, first 2 shown]
	v_sub_f32_e32 v51, v115, v116
	v_add_f32_e32 v67, v89, v116
	v_sub_f32_e32 v88, v89, v20
	v_sub_f32_e32 v99, v116, v115
	v_add_f32_e32 v100, v20, v115
	v_sub_f32_e32 v121, v20, v115
	v_mul_f32_e32 v48, v60, v98
	s_waitcnt lgkmcnt(5)
	v_mul_f32_e32 v125, v64, v96
	v_mul_f32_e32 v6, v65, v96
	v_mul_f32_e32 v7, v61, v98
	v_add_f32_e32 v19, v20, v117
	v_add_f32_e32 v20, v118, v119
	v_fma_f32 v2, -0.5, v124, v43
	v_add_f32_e32 v8, v9, v8
	v_add_f32_e32 v96, v11, v47
	;; [unrolled: 1-line block ×6, first 2 shown]
	v_fmac_f32_e32 v18, v35, v59
	v_fmac_f32_e32 v50, v39, v63
	v_fma_f32 v35, v35, v58, -v4
	v_fma_f32 v58, v39, v62, -v13
	s_waitcnt vmcnt(5)
	v_mul_f32_e32 v39, v69, v103
	s_waitcnt vmcnt(4)
	v_mul_f32_e32 v63, v81, v95
	v_sub_f32_e32 v87, v9, v10
	v_sub_f32_e32 v123, v14, v10
	v_add_f32_e32 v49, v49, v51
	v_fma_f32 v1, -0.5, v67, v102
	v_add_f32_e32 v51, v88, v99
	v_fma_f32 v3, -0.5, v100, v102
	v_fma_f32 v0, -0.5, v120, v43
	v_sub_f32_e32 v9, v12, v11
	v_sub_f32_e32 v99, v11, v12
	;; [unrolled: 1-line block ×3, first 2 shown]
	v_add_f32_e32 v102, v12, v45
	v_sub_f32_e32 v106, v15, v5
	v_sub_f32_e32 v117, v46, v44
	;; [unrolled: 1-line block ×4, first 2 shown]
	v_fmac_f32_e32 v48, v37, v61
	v_fmac_f32_e32 v125, v41, v65
	v_fma_f32 v61, v41, v64, -v6
	v_fma_f32 v41, v37, v60, -v7
	v_mul_f32_e32 v60, v71, v97
	v_mul_f32_e32 v62, v79, v105
	;; [unrolled: 1-line block ×6, first 2 shown]
	v_add_f32_e32 v8, v8, v10
	v_fma_f32 v11, -0.5, v96, v101
	v_add_f32_e32 v96, v12, v104
	v_fma_f32 v10, -0.5, v118, v42
	v_fma_f32 v12, -0.5, v124, v42
	v_add_f32_e32 v42, v15, v126
	v_add_f32_e32 v130, v33, v35
	v_fmac_f32_e32 v39, v34, v70
	v_fmac_f32_e32 v63, v40, v82
	v_sub_f32_e32 v89, v89, v116
	v_add_f32_e32 v67, v122, v123
	v_sub_f32_e32 v43, v45, v47
	v_sub_f32_e32 v88, v5, v44
	;; [unrolled: 1-line block ×5, first 2 shown]
	v_fmamk_f32 v7, v87, 0xbf737871, v1
	v_fmac_f32_e32 v1, 0x3f737871, v87
	v_fmamk_f32 v5, v66, 0x3f737871, v3
	v_fmac_f32_e32 v3, 0xbf737871, v66
	v_add_f32_e32 v19, v115, v19
	v_fmamk_f32 v6, v121, 0x3f737871, v0
	v_fmac_f32_e32 v0, 0xbf737871, v121
	v_add_f32_e32 v95, v99, v100
	v_fma_f32 v13, -0.5, v102, v101
	v_add_f32_e32 v97, v106, v117
	v_sub_f32_e32 v100, v48, v18
	v_sub_f32_e32 v101, v50, v125
	;; [unrolled: 1-line block ×4, first 2 shown]
	s_waitcnt lgkmcnt(4)
	v_add_f32_e32 v117, v18, v108
	v_fmac_f32_e32 v60, v36, v72
	v_fmac_f32_e32 v62, v38, v80
	v_fma_f32 v69, v34, v69, -v37
	v_fma_f32 v70, v40, v81, -v59
	;; [unrolled: 1-line block ×4, first 2 shown]
	v_add_f32_e32 v34, v45, v96
	v_add_f32_e32 v40, v42, v46
	;; [unrolled: 1-line block ×7, first 2 shown]
	v_sub_f32_e32 v124, v48, v50
	v_fmac_f32_e32 v7, 0x3f167918, v66
	v_fmac_f32_e32 v1, 0xbf167918, v66
	;; [unrolled: 1-line block ×4, first 2 shown]
	v_add_f32_e32 v9, v116, v19
	v_fmac_f32_e32 v6, 0xbf167918, v89
	v_fmac_f32_e32 v0, 0x3f167918, v89
	v_fmamk_f32 v19, v98, 0xbf737871, v11
	v_fmac_f32_e32 v11, 0x3f737871, v98
	v_add_f32_e32 v66, v100, v101
	v_add_f32_e32 v71, v105, v106
	;; [unrolled: 1-line block ×3, first 2 shown]
	v_sub_f32_e32 v48, v60, v39
	v_sub_f32_e32 v59, v62, v63
	;; [unrolled: 1-line block ×3, first 2 shown]
	v_add_f32_e32 v100, v39, v107
	v_add_f32_e32 v105, v69, v70
	;; [unrolled: 1-line block ×4, first 2 shown]
	v_fma_f32 v46, -0.5, v81, v107
	v_add_f32_e32 v99, v122, v123
	v_sub_f32_e32 v104, v41, v58
	v_add_f32_e32 v123, v35, v61
	v_add_f32_e32 v129, v41, v58
	v_fma_f32 v36, -0.5, v103, v108
	v_sub_f32_e32 v80, v69, v70
	v_add_f32_e32 v96, v60, v62
	v_sub_f32_e32 v106, v60, v62
	v_fmac_f32_e32 v7, 0x3e9e377a, v49
	v_fmac_f32_e32 v1, 0x3e9e377a, v49
	;; [unrolled: 1-line block ×8, first 2 shown]
	v_add_f32_e32 v20, v50, v45
	v_add_f32_e32 v51, v48, v59
	;; [unrolled: 1-line block ×3, first 2 shown]
	v_fma_f32 v45, -0.5, v105, v32
	v_fmamk_f32 v48, v82, 0xbf737871, v46
	v_fmac_f32_e32 v46, 0x3f737871, v82
	v_fmamk_f32 v4, v89, 0xbf737871, v2
	v_fmac_f32_e32 v2, 0x3f737871, v89
	v_sub_f32_e32 v102, v35, v61
	v_sub_f32_e32 v118, v41, v35
	;; [unrolled: 1-line block ×3, first 2 shown]
	v_fma_f32 v38, -0.5, v115, v108
	v_fma_f32 v35, -0.5, v123, v33
	;; [unrolled: 1-line block ×3, first 2 shown]
	v_sub_f32_e32 v101, v64, v69
	v_sub_f32_e32 v103, v65, v70
	;; [unrolled: 1-line block ×3, first 2 shown]
	v_add_f32_e32 v33, v40, v44
	v_fmamk_f32 v40, v104, 0xbf737871, v36
	v_fmac_f32_e32 v36, 0x3f737871, v104
	v_fma_f32 v59, -0.5, v96, v107
	v_fmac_f32_e32 v19, 0x3e9e377a, v43
	v_fmac_f32_e32 v11, 0x3e9e377a, v43
	v_add_f32_e32 v44, v125, v20
	v_add_f32_e32 v43, v47, v61
	;; [unrolled: 1-line block ×3, first 2 shown]
	v_fmamk_f32 v47, v106, 0x3f737871, v45
	v_fmac_f32_e32 v45, 0xbf737871, v106
	v_fmac_f32_e32 v48, 0x3f167918, v80
	v_fmac_f32_e32 v46, 0xbf167918, v80
	v_sub_f32_e32 v122, v58, v61
	v_sub_f32_e32 v128, v61, v58
	v_fmac_f32_e32 v4, 0xbf167918, v121
	v_fmac_f32_e32 v2, 0x3f167918, v121
	v_sub_f32_e32 v87, v39, v60
	v_sub_f32_e32 v89, v63, v62
	v_fmac_f32_e32 v40, 0x3f167918, v102
	v_fmac_f32_e32 v36, 0xbf167918, v102
	v_fmamk_f32 v50, v80, 0x3f737871, v59
	v_fmac_f32_e32 v59, 0xbf737871, v80
	v_fmac_f32_e32 v48, 0x3e9e377a, v51
	;; [unrolled: 1-line block ×3, first 2 shown]
	v_add_f32_e32 v51, v101, v103
	v_fmac_f32_e32 v47, 0xbf167918, v108
	v_fmac_f32_e32 v45, 0x3f167918, v108
	v_add_f32_e32 v61, v63, v20
	ds_read2_b32 v[62:63], v68 offset1:125
	v_sub_f32_e32 v126, v18, v125
	v_add_f32_e32 v117, v64, v65
	v_fmac_f32_e32 v4, 0x3e9e377a, v67
	v_fmac_f32_e32 v2, 0x3e9e377a, v67
	v_fmamk_f32 v42, v102, 0x3f737871, v38
	v_fmac_f32_e32 v38, 0xbf737871, v102
	v_fmamk_f32 v39, v124, 0x3f737871, v35
	v_fmac_f32_e32 v35, 0xbf737871, v124
	v_add_f32_e32 v67, v87, v89
	v_fmac_f32_e32 v40, 0x3e9e377a, v66
	v_fmac_f32_e32 v36, 0x3e9e377a, v66
	;; [unrolled: 1-line block ×6, first 2 shown]
	s_waitcnt vmcnt(3) lgkmcnt(4)
	v_mul_f32_e32 v20, v56, v110
	s_waitcnt lgkmcnt(3)
	v_mul_f32_e32 v51, v54, v112
	s_waitcnt vmcnt(2) lgkmcnt(1)
	v_mul_f32_e32 v66, v85, v78
	v_add_f32_e32 v72, v118, v122
	v_fma_f32 v58, -0.5, v117, v32
	v_fmac_f32_e32 v42, 0x3f167918, v104
	v_fmac_f32_e32 v38, 0xbf167918, v104
	;; [unrolled: 1-line block ×6, first 2 shown]
	v_add_f32_e32 v67, v32, v69
	v_fmac_f32_e32 v20, v29, v57
	v_fmac_f32_e32 v51, v25, v55
	;; [unrolled: 1-line block ×3, first 2 shown]
	v_mul_f32_e32 v32, v57, v110
	v_mul_f32_e32 v57, v84, v114
	v_sub_f32_e32 v115, v69, v64
	v_fmac_f32_e32 v42, 0x3e9e377a, v71
	v_fmac_f32_e32 v38, 0x3e9e377a, v71
	;; [unrolled: 1-line block ×4, first 2 shown]
	v_mul_f32_e32 v68, v83, v114
	v_mul_f32_e32 v55, v55, v112
	;; [unrolled: 1-line block ×3, first 2 shown]
	v_add_f32_e32 v71, v51, v66
	v_fma_f32 v29, v29, v56, -v32
	v_fma_f32 v72, v31, v83, -v57
	v_sub_f32_e32 v116, v70, v65
	v_fmamk_f32 v49, v108, 0xbf737871, v58
	v_fmac_f32_e32 v58, 0x3f737871, v108
	v_fmac_f32_e32 v68, v31, v84
	v_fma_f32 v25, v25, v54, -v55
	v_fma_f32 v27, v27, v85, -v69
	s_waitcnt lgkmcnt(0)
	v_fma_f32 v32, -0.5, v71, v63
	v_sub_f32_e32 v54, v29, v72
	v_add_f32_e32 v31, v64, v67
	v_add_f32_e32 v60, v115, v116
	v_fmac_f32_e32 v49, 0xbf167918, v106
	v_fmac_f32_e32 v58, 0x3f167918, v106
	v_sub_f32_e32 v56, v20, v51
	v_sub_f32_e32 v57, v68, v66
	v_sub_f32_e32 v67, v25, v27
	v_fmamk_f32 v55, v54, 0xbf737871, v32
	v_add_f32_e32 v31, v31, v65
	v_fmac_f32_e32 v32, 0x3f737871, v54
	v_fmac_f32_e32 v49, 0x3e9e377a, v60
	v_add_f32_e32 v64, v20, v68
	v_fmac_f32_e32 v58, 0x3e9e377a, v60
	v_add_f32_e32 v56, v56, v57
	;; [unrolled: 2-line block ×4, first 2 shown]
	v_fma_f32 v57, -0.5, v64, v63
	v_fmac_f32_e32 v55, 0x3e9e377a, v56
	v_sub_f32_e32 v65, v51, v20
	v_fmac_f32_e32 v32, 0x3e9e377a, v56
	v_add_f32_e32 v56, v20, v31
	v_sub_f32_e32 v69, v66, v68
	v_fmamk_f32 v64, v67, 0x3f737871, v57
	v_add_f32_e32 v63, v25, v27
	v_fmac_f32_e32 v57, 0xbf737871, v67
	v_sub_f32_e32 v20, v20, v68
	v_add_f32_e32 v56, v68, v56
	v_add_f32_e32 v68, v29, v72
	;; [unrolled: 1-line block ×3, first 2 shown]
	v_fmac_f32_e32 v64, 0x3f167918, v54
	v_fma_f32 v31, -0.5, v63, v23
	v_fmac_f32_e32 v57, 0xbf167918, v54
	v_sub_f32_e32 v63, v29, v25
	v_sub_f32_e32 v67, v72, v27
	;; [unrolled: 1-line block ×3, first 2 shown]
	v_add_f32_e32 v66, v66, v56
	v_fma_f32 v56, -0.5, v68, v23
	v_fmac_f32_e32 v64, 0x3e9e377a, v65
	v_fmac_f32_e32 v57, 0x3e9e377a, v65
	v_add_f32_e32 v65, v63, v67
	v_add_f32_e32 v23, v23, v25
	v_fmamk_f32 v63, v51, 0xbf737871, v56
	v_fmac_f32_e32 v56, 0x3f737871, v51
	v_fmamk_f32 v54, v20, 0x3f737871, v31
	v_fmac_f32_e32 v31, 0xbf737871, v20
	v_sub_f32_e32 v67, v25, v29
	v_sub_f32_e32 v68, v27, v72
	v_fmac_f32_e32 v63, 0xbf167918, v20
	v_fmac_f32_e32 v56, 0x3f167918, v20
	v_add_f32_e32 v20, v29, v23
	v_fmac_f32_e32 v54, 0xbf167918, v51
	v_fmac_f32_e32 v31, 0x3f167918, v51
	v_add_f32_e32 v25, v67, v68
	s_waitcnt vmcnt(1)
	v_mul_f32_e32 v29, v73, v111
	v_add_f32_e32 v20, v20, v72
	s_waitcnt vmcnt(0)
	v_mul_f32_e32 v67, v93, v77
	v_fmac_f32_e32 v54, 0x3e9e377a, v65
	v_fmac_f32_e32 v31, 0x3e9e377a, v65
	;; [unrolled: 1-line block ×3, first 2 shown]
	v_add_f32_e32 v65, v20, v27
	v_fmac_f32_e32 v67, v26, v94
	v_mul_f32_e32 v20, v76, v109
	v_mul_f32_e32 v23, v92, v113
	v_fmac_f32_e32 v63, 0x3e9e377a, v25
	v_fmac_f32_e32 v56, 0x3e9e377a, v25
	v_mul_f32_e32 v25, v75, v109
	v_mul_f32_e32 v51, v91, v113
	;; [unrolled: 1-line block ×4, first 2 shown]
	v_add_f32_e32 v69, v29, v67
	v_fma_f32 v20, v28, v75, -v20
	v_fma_f32 v70, v30, v91, -v23
	v_fmac_f32_e32 v25, v28, v76
	v_fmac_f32_e32 v51, v30, v92
	v_fma_f32 v71, v24, v73, -v27
	v_fma_f32 v72, v26, v93, -v68
	v_fma_f32 v24, -0.5, v69, v62
	v_sub_f32_e32 v68, v20, v70
	v_sub_f32_e32 v27, v25, v29
	;; [unrolled: 1-line block ×4, first 2 shown]
	v_add_f32_e32 v23, v25, v51
	v_fmamk_f32 v28, v68, 0xbf737871, v24
	v_fmac_f32_e32 v24, 0x3f737871, v68
	v_add_f32_e32 v27, v27, v69
	v_sub_f32_e32 v74, v67, v51
	v_fma_f32 v26, -0.5, v23, v62
	v_fmac_f32_e32 v28, 0x3f167918, v73
	v_fmac_f32_e32 v24, 0xbf167918, v73
	v_sub_f32_e32 v23, v29, v25
	v_sub_f32_e32 v75, v29, v67
	v_fmamk_f32 v30, v73, 0x3f737871, v26
	v_fmac_f32_e32 v28, 0x3e9e377a, v27
	v_fmac_f32_e32 v24, 0x3e9e377a, v27
	v_add_f32_e32 v27, v29, v62
	v_sub_f32_e32 v62, v25, v51
	v_add_f32_e32 v69, v23, v74
	v_add_f32_e32 v23, v71, v72
	v_fmac_f32_e32 v26, 0xbf737871, v73
	v_add_f32_e32 v25, v25, v27
	v_add_f32_e32 v29, v20, v70
	v_fmac_f32_e32 v30, 0x3f167918, v68
	v_fma_f32 v23, -0.5, v23, v22
	v_fmac_f32_e32 v26, 0xbf167918, v68
	v_add_f32_e32 v25, v51, v25
	v_mul_hi_u32 v51, 0x57619f1, v90
	v_sub_f32_e32 v73, v20, v71
	v_fmamk_f32 v27, v62, 0x3f737871, v23
	v_fmac_f32_e32 v23, 0xbf737871, v62
	v_add_f32_e32 v68, v67, v25
	v_fma_f32 v25, -0.5, v29, v22
	v_add_f32_e32 v22, v22, v71
	v_sub_f32_e32 v67, v71, v20
	v_lshrrev_b32_e32 v51, 4, v51
	v_fmac_f32_e32 v30, 0x3e9e377a, v69
	v_fmamk_f32 v29, v75, 0xbf737871, v25
	v_add_f32_e32 v20, v20, v22
	v_fmac_f32_e32 v25, 0x3f737871, v75
	v_mul_u32_u24_e32 v22, 0x2ee, v51
	v_lshlrev_b64 v[51:52], 3, v[52:53]
	v_add_nc_u32_e32 v53, 0x7d, v90
	v_fmac_f32_e32 v29, 0xbf167918, v62
	v_fmac_f32_e32 v25, 0x3f167918, v62
	v_sub_nc_u32_e32 v22, v90, v22
	v_sub_f32_e32 v74, v70, v72
	v_add_co_u32 v51, vcc_lo, s10, v51
	v_add_co_ci_u32_e32 v52, vcc_lo, s11, v52, vcc_lo
	v_lshlrev_b32_e32 v22, 3, v22
	v_add_co_u32 v62, vcc_lo, v51, v16
	v_mul_hi_u32 v71, 0x57619f1, v53
	v_fmac_f32_e32 v26, 0x3e9e377a, v69
	v_sub_f32_e32 v69, v72, v70
	v_add_f32_e32 v20, v20, v70
	v_add_co_ci_u32_e32 v70, vcc_lo, v52, v17, vcc_lo
	v_add_co_u32 v16, vcc_lo, v62, v22
	v_add_f32_e32 v69, v67, v69
	v_add_co_ci_u32_e32 v17, vcc_lo, 0, v70, vcc_lo
	v_add_f32_e32 v67, v20, v72
	v_lshrrev_b32_e32 v20, 4, v71
	v_add_co_u32 v51, vcc_lo, 0x1000, v16
	v_fmac_f32_e32 v25, 0x3e9e377a, v69
	v_add_co_ci_u32_e32 v52, vcc_lo, 0, v17, vcc_lo
	v_mul_u32_u24_e32 v22, 0x2ee, v20
	global_store_dwordx2 v[16:17], v[67:68], off
	global_store_dwordx2 v[51:52], v[25:26], off offset:1904
	v_add_co_u32 v25, vcc_lo, 0x2800, v16
	v_add_f32_e32 v73, v73, v74
	v_fmac_f32_e32 v27, 0xbf167918, v75
	v_fmac_f32_e32 v23, 0x3f167918, v75
	v_add_co_ci_u32_e32 v26, vcc_lo, 0, v17, vcc_lo
	v_sub_nc_u32_e32 v22, v53, v22
	v_add_co_u32 v51, vcc_lo, 0x4000, v16
	v_add_co_ci_u32_e32 v52, vcc_lo, 0, v17, vcc_lo
	v_add_co_u32 v16, vcc_lo, 0x5800, v16
	v_fmac_f32_e32 v27, 0x3e9e377a, v73
	v_fmac_f32_e32 v23, 0x3e9e377a, v73
	v_mad_u32_u24 v20, 0xea6, v20, v22
	v_fmac_f32_e32 v29, 0x3e9e377a, v69
	v_add_co_ci_u32_e32 v17, vcc_lo, 0, v17, vcc_lo
	v_mov_b32_e32 v68, v21
	v_add_nc_u32_e32 v67, 0x2ee, v20
	global_store_dwordx2 v[25:26], v[23:24], off offset:1760
	global_store_dwordx2 v[51:52], v[27:28], off offset:1616
	;; [unrolled: 1-line block ×3, first 2 shown]
	v_add_nc_u32_e32 v28, 0xfa, v90
	v_lshlrev_b64 v[22:23], 3, v[20:21]
	v_lshlrev_b64 v[16:17], 3, v[67:68]
	v_add_nc_u32_e32 v26, 0x8ca, v20
	v_mov_b32_e32 v27, v21
	v_mul_hi_u32 v29, 0x57619f1, v28
	v_add_nc_u32_e32 v24, 0x5dc, v20
	v_add_co_u32 v22, vcc_lo, v62, v22
	v_add_co_ci_u32_e32 v23, vcc_lo, v70, v23, vcc_lo
	v_add_co_u32 v16, vcc_lo, v62, v16
	v_add_co_ci_u32_e32 v17, vcc_lo, v70, v17, vcc_lo
	v_lshrrev_b32_e32 v29, 4, v29
	v_mov_b32_e32 v25, v21
	v_add_nc_u32_e32 v20, 0xbb8, v20
	global_store_dwordx2 v[16:17], v[56:57], off
	v_lshlrev_b64 v[16:17], 3, v[26:27]
	v_mul_u32_u24_e32 v26, 0x2ee, v29
	global_store_dwordx2 v[22:23], v[65:66], off
	v_lshlrev_b64 v[22:23], 3, v[24:25]
	v_lshlrev_b64 v[24:25], 3, v[20:21]
	v_fmamk_f32 v41, v126, 0xbf737871, v37
	v_sub_nc_u32_e32 v20, v28, v26
	v_add_nc_u32_e32 v28, 0x177, v90
	v_fmac_f32_e32 v37, 0x3f737871, v126
	v_add_co_u32 v22, vcc_lo, v62, v22
	v_add_co_ci_u32_e32 v23, vcc_lo, v70, v23, vcc_lo
	v_mad_u32_u24 v20, 0xea6, v29, v20
	v_add_co_u32 v16, vcc_lo, v62, v16
	v_add_co_ci_u32_e32 v17, vcc_lo, v70, v17, vcc_lo
	v_add_co_u32 v24, vcc_lo, v62, v24
	v_add_nc_u32_e32 v26, 0x2ee, v20
	v_add_co_ci_u32_e32 v25, vcc_lo, v70, v25, vcc_lo
	global_store_dwordx2 v[22:23], v[31:32], off
	v_lshlrev_b64 v[22:23], 3, v[20:21]
	global_store_dwordx2 v[16:17], v[54:55], off
	global_store_dwordx2 v[24:25], v[63:64], off
	v_lshlrev_b64 v[16:17], 3, v[26:27]
	v_mul_hi_u32 v29, 0x57619f1, v28
	v_add_nc_u32_e32 v26, 0x8ca, v20
	v_add_nc_u32_e32 v24, 0x5dc, v20
	v_add_co_u32 v22, vcc_lo, v62, v22
	v_add_co_ci_u32_e32 v23, vcc_lo, v70, v23, vcc_lo
	v_add_co_u32 v16, vcc_lo, v62, v16
	v_add_co_ci_u32_e32 v17, vcc_lo, v70, v17, vcc_lo
	v_lshrrev_b32_e32 v29, 4, v29
	v_mov_b32_e32 v25, v21
	v_add_nc_u32_e32 v20, 0xbb8, v20
	global_store_dwordx2 v[16:17], v[58:59], off
	v_lshlrev_b64 v[16:17], 3, v[26:27]
	v_mul_u32_u24_e32 v26, 0x2ee, v29
	global_store_dwordx2 v[22:23], v[60:61], off
	v_lshlrev_b64 v[22:23], 3, v[24:25]
	v_lshlrev_b64 v[24:25], 3, v[20:21]
	v_add_f32_e32 v79, v127, v128
	v_sub_nc_u32_e32 v20, v28, v26
	v_add_nc_u32_e32 v28, 0x1f4, v90
	v_fmac_f32_e32 v37, 0x3f167918, v124
	v_add_co_u32 v22, vcc_lo, v62, v22
	v_add_co_ci_u32_e32 v23, vcc_lo, v70, v23, vcc_lo
	v_mad_u32_u24 v20, 0xea6, v29, v20
	v_add_co_u32 v16, vcc_lo, v62, v16
	v_add_co_ci_u32_e32 v17, vcc_lo, v70, v17, vcc_lo
	v_add_co_u32 v24, vcc_lo, v62, v24
	v_add_nc_u32_e32 v26, 0x2ee, v20
	v_add_co_ci_u32_e32 v25, vcc_lo, v70, v25, vcc_lo
	global_store_dwordx2 v[22:23], v[45:46], off
	v_lshlrev_b64 v[22:23], 3, v[20:21]
	global_store_dwordx2 v[16:17], v[47:48], off
	global_store_dwordx2 v[24:25], v[49:50], off
	v_lshlrev_b64 v[16:17], 3, v[26:27]
	v_mul_hi_u32 v29, 0x57619f1, v28
	v_fmac_f32_e32 v37, 0x3e9e377a, v79
	v_add_nc_u32_e32 v26, 0x8ca, v20
	v_add_co_u32 v22, vcc_lo, v62, v22
	v_add_co_ci_u32_e32 v23, vcc_lo, v70, v23, vcc_lo
	v_add_co_u32 v16, vcc_lo, v62, v16
	v_add_co_ci_u32_e32 v17, vcc_lo, v70, v17, vcc_lo
	v_lshrrev_b32_e32 v29, 4, v29
	v_add_nc_u32_e32 v24, 0x5dc, v20
	v_mov_b32_e32 v25, v21
	global_store_dwordx2 v[16:17], v[37:38], off
	v_lshlrev_b64 v[16:17], 3, v[26:27]
	v_add_nc_u32_e32 v20, 0xbb8, v20
	v_mul_u32_u24_e32 v26, 0x2ee, v29
	global_store_dwordx2 v[22:23], v[43:44], off
	v_lshlrev_b64 v[22:23], 3, v[24:25]
	v_fmac_f32_e32 v41, 0xbf167918, v124
	v_lshlrev_b64 v[24:25], 3, v[20:21]
	v_sub_nc_u32_e32 v20, v28, v26
	v_add_nc_u32_e32 v28, 0x271, v90
	v_add_f32_e32 v8, v8, v14
	v_add_co_u32 v22, vcc_lo, v62, v22
	v_add_co_ci_u32_e32 v23, vcc_lo, v70, v23, vcc_lo
	v_mad_u32_u24 v20, 0xea6, v29, v20
	v_add_co_u32 v16, vcc_lo, v62, v16
	v_add_co_ci_u32_e32 v17, vcc_lo, v70, v17, vcc_lo
	v_add_co_u32 v24, vcc_lo, v62, v24
	v_add_nc_u32_e32 v26, 0x2ee, v20
	global_store_dwordx2 v[22:23], v[35:36], off
	v_lshlrev_b64 v[22:23], 3, v[20:21]
	v_fmac_f32_e32 v41, 0x3e9e377a, v79
	v_add_co_ci_u32_e32 v25, vcc_lo, v70, v25, vcc_lo
	v_fmamk_f32 v15, v88, 0x3f737871, v13
	v_fmac_f32_e32 v13, 0xbf737871, v88
	v_fmamk_f32 v14, v120, 0xbf737871, v12
	v_fmac_f32_e32 v12, 0x3f737871, v120
	v_mul_hi_u32 v29, 0x57619f1, v28
	global_store_dwordx2 v[16:17], v[39:40], off
	global_store_dwordx2 v[24:25], v[41:42], off
	v_lshlrev_b64 v[16:17], 3, v[26:27]
	v_add_co_u32 v22, vcc_lo, v62, v22
	v_fmac_f32_e32 v13, 0xbf167918, v98
	v_fmac_f32_e32 v12, 0x3f167918, v119
	v_add_co_ci_u32_e32 v23, vcc_lo, v70, v23, vcc_lo
	v_add_nc_u32_e32 v24, 0x5dc, v20
	v_mov_b32_e32 v25, v21
	v_add_co_u32 v16, vcc_lo, v62, v16
	v_lshrrev_b32_e32 v29, 4, v29
	v_fmac_f32_e32 v13, 0x3e9e377a, v95
	v_fmac_f32_e32 v12, 0x3e9e377a, v99
	v_add_co_ci_u32_e32 v17, vcc_lo, v70, v17, vcc_lo
	v_add_nc_u32_e32 v26, 0x8ca, v20
	global_store_dwordx2 v[22:23], v[33:34], off
	v_lshlrev_b64 v[22:23], 3, v[24:25]
	v_add_nc_u32_e32 v20, 0xbb8, v20
	v_mul_u32_u24_e32 v24, 0x2ee, v29
	v_fmamk_f32 v18, v119, 0x3f737871, v10
	v_fmac_f32_e32 v10, 0xbf737871, v119
	global_store_dwordx2 v[16:17], v[12:13], off
	v_lshlrev_b64 v[12:13], 3, v[26:27]
	v_add_co_u32 v16, vcc_lo, v62, v22
	v_add_co_ci_u32_e32 v17, vcc_lo, v70, v23, vcc_lo
	v_lshlrev_b64 v[22:23], 3, v[20:21]
	v_sub_nc_u32_e32 v20, v28, v24
	v_fmac_f32_e32 v10, 0x3f167918, v120
	v_fmac_f32_e32 v15, 0x3f167918, v98
	;; [unrolled: 1-line block ×4, first 2 shown]
	v_add_co_u32 v12, vcc_lo, v62, v12
	v_add_co_ci_u32_e32 v13, vcc_lo, v70, v13, vcc_lo
	v_mad_u32_u24 v20, 0xea6, v29, v20
	v_add_co_u32 v22, vcc_lo, v62, v22
	v_fmac_f32_e32 v10, 0x3e9e377a, v97
	v_fmac_f32_e32 v15, 0x3e9e377a, v95
	;; [unrolled: 1-line block ×4, first 2 shown]
	v_add_co_ci_u32_e32 v23, vcc_lo, v70, v23, vcc_lo
	v_add_nc_u32_e32 v24, 0x2ee, v20
	global_store_dwordx2 v[16:17], v[10:11], off
	global_store_dwordx2 v[12:13], v[18:19], off
	v_lshlrev_b64 v[10:11], 3, v[20:21]
	global_store_dwordx2 v[22:23], v[14:15], off
	v_add_nc_u32_e32 v14, 0x5dc, v20
	v_mov_b32_e32 v15, v21
	v_lshlrev_b64 v[12:13], 3, v[24:25]
	v_add_nc_u32_e32 v16, 0x8ca, v20
	v_mov_b32_e32 v17, v21
	v_add_co_u32 v10, vcc_lo, v62, v10
	v_lshlrev_b64 v[14:15], 3, v[14:15]
	v_add_nc_u32_e32 v20, 0xbb8, v20
	v_add_co_ci_u32_e32 v11, vcc_lo, v70, v11, vcc_lo
	v_add_co_u32 v12, vcc_lo, v62, v12
	v_lshlrev_b64 v[16:17], 3, v[16:17]
	v_add_co_ci_u32_e32 v13, vcc_lo, v70, v13, vcc_lo
	v_add_co_u32 v14, vcc_lo, v62, v14
	v_lshlrev_b64 v[18:19], 3, v[20:21]
	v_add_co_ci_u32_e32 v15, vcc_lo, v70, v15, vcc_lo
	v_add_co_u32 v16, vcc_lo, v62, v16
	v_add_co_ci_u32_e32 v17, vcc_lo, v70, v17, vcc_lo
	v_add_co_u32 v18, vcc_lo, v62, v18
	v_add_co_ci_u32_e32 v19, vcc_lo, v70, v19, vcc_lo
	global_store_dwordx2 v[10:11], v[8:9], off
	global_store_dwordx2 v[12:13], v[2:3], off
	;; [unrolled: 1-line block ×5, first 2 shown]
.LBB0_15:
	s_endpgm
	.section	.rodata,"a",@progbits
	.p2align	6, 0x0
	.amdhsa_kernel fft_rtc_fwd_len3750_factors_3_5_5_10_5_wgs_125_tpt_125_halfLds_sp_op_CI_CI_unitstride_sbrr_dirReg
		.amdhsa_group_segment_fixed_size 0
		.amdhsa_private_segment_fixed_size 0
		.amdhsa_kernarg_size 104
		.amdhsa_user_sgpr_count 6
		.amdhsa_user_sgpr_private_segment_buffer 1
		.amdhsa_user_sgpr_dispatch_ptr 0
		.amdhsa_user_sgpr_queue_ptr 0
		.amdhsa_user_sgpr_kernarg_segment_ptr 1
		.amdhsa_user_sgpr_dispatch_id 0
		.amdhsa_user_sgpr_flat_scratch_init 0
		.amdhsa_user_sgpr_private_segment_size 0
		.amdhsa_wavefront_size32 1
		.amdhsa_uses_dynamic_stack 0
		.amdhsa_system_sgpr_private_segment_wavefront_offset 0
		.amdhsa_system_sgpr_workgroup_id_x 1
		.amdhsa_system_sgpr_workgroup_id_y 0
		.amdhsa_system_sgpr_workgroup_id_z 0
		.amdhsa_system_sgpr_workgroup_info 0
		.amdhsa_system_vgpr_workitem_id 0
		.amdhsa_next_free_vgpr 159
		.amdhsa_next_free_sgpr 27
		.amdhsa_reserve_vcc 1
		.amdhsa_reserve_flat_scratch 0
		.amdhsa_float_round_mode_32 0
		.amdhsa_float_round_mode_16_64 0
		.amdhsa_float_denorm_mode_32 3
		.amdhsa_float_denorm_mode_16_64 3
		.amdhsa_dx10_clamp 1
		.amdhsa_ieee_mode 1
		.amdhsa_fp16_overflow 0
		.amdhsa_workgroup_processor_mode 1
		.amdhsa_memory_ordered 1
		.amdhsa_forward_progress 0
		.amdhsa_shared_vgpr_count 0
		.amdhsa_exception_fp_ieee_invalid_op 0
		.amdhsa_exception_fp_denorm_src 0
		.amdhsa_exception_fp_ieee_div_zero 0
		.amdhsa_exception_fp_ieee_overflow 0
		.amdhsa_exception_fp_ieee_underflow 0
		.amdhsa_exception_fp_ieee_inexact 0
		.amdhsa_exception_int_div_zero 0
	.end_amdhsa_kernel
	.text
.Lfunc_end0:
	.size	fft_rtc_fwd_len3750_factors_3_5_5_10_5_wgs_125_tpt_125_halfLds_sp_op_CI_CI_unitstride_sbrr_dirReg, .Lfunc_end0-fft_rtc_fwd_len3750_factors_3_5_5_10_5_wgs_125_tpt_125_halfLds_sp_op_CI_CI_unitstride_sbrr_dirReg
                                        ; -- End function
	.section	.AMDGPU.csdata,"",@progbits
; Kernel info:
; codeLenInByte = 19432
; NumSgprs: 29
; NumVgprs: 159
; ScratchSize: 0
; MemoryBound: 0
; FloatMode: 240
; IeeeMode: 1
; LDSByteSize: 0 bytes/workgroup (compile time only)
; SGPRBlocks: 3
; VGPRBlocks: 19
; NumSGPRsForWavesPerEU: 29
; NumVGPRsForWavesPerEU: 159
; Occupancy: 6
; WaveLimiterHint : 1
; COMPUTE_PGM_RSRC2:SCRATCH_EN: 0
; COMPUTE_PGM_RSRC2:USER_SGPR: 6
; COMPUTE_PGM_RSRC2:TRAP_HANDLER: 0
; COMPUTE_PGM_RSRC2:TGID_X_EN: 1
; COMPUTE_PGM_RSRC2:TGID_Y_EN: 0
; COMPUTE_PGM_RSRC2:TGID_Z_EN: 0
; COMPUTE_PGM_RSRC2:TIDIG_COMP_CNT: 0
	.text
	.p2alignl 6, 3214868480
	.fill 48, 4, 3214868480
	.type	__hip_cuid_c1ff681706655335,@object ; @__hip_cuid_c1ff681706655335
	.section	.bss,"aw",@nobits
	.globl	__hip_cuid_c1ff681706655335
__hip_cuid_c1ff681706655335:
	.byte	0                               ; 0x0
	.size	__hip_cuid_c1ff681706655335, 1

	.ident	"AMD clang version 19.0.0git (https://github.com/RadeonOpenCompute/llvm-project roc-6.4.0 25133 c7fe45cf4b819c5991fe208aaa96edf142730f1d)"
	.section	".note.GNU-stack","",@progbits
	.addrsig
	.addrsig_sym __hip_cuid_c1ff681706655335
	.amdgpu_metadata
---
amdhsa.kernels:
  - .args:
      - .actual_access:  read_only
        .address_space:  global
        .offset:         0
        .size:           8
        .value_kind:     global_buffer
      - .offset:         8
        .size:           8
        .value_kind:     by_value
      - .actual_access:  read_only
        .address_space:  global
        .offset:         16
        .size:           8
        .value_kind:     global_buffer
      - .actual_access:  read_only
        .address_space:  global
        .offset:         24
        .size:           8
        .value_kind:     global_buffer
      - .actual_access:  read_only
        .address_space:  global
        .offset:         32
        .size:           8
        .value_kind:     global_buffer
      - .offset:         40
        .size:           8
        .value_kind:     by_value
      - .actual_access:  read_only
        .address_space:  global
        .offset:         48
        .size:           8
        .value_kind:     global_buffer
      - .actual_access:  read_only
        .address_space:  global
        .offset:         56
        .size:           8
        .value_kind:     global_buffer
      - .offset:         64
        .size:           4
        .value_kind:     by_value
      - .actual_access:  read_only
        .address_space:  global
        .offset:         72
        .size:           8
        .value_kind:     global_buffer
      - .actual_access:  read_only
        .address_space:  global
        .offset:         80
        .size:           8
        .value_kind:     global_buffer
      - .actual_access:  read_only
        .address_space:  global
        .offset:         88
        .size:           8
        .value_kind:     global_buffer
      - .actual_access:  write_only
        .address_space:  global
        .offset:         96
        .size:           8
        .value_kind:     global_buffer
    .group_segment_fixed_size: 0
    .kernarg_segment_align: 8
    .kernarg_segment_size: 104
    .language:       OpenCL C
    .language_version:
      - 2
      - 0
    .max_flat_workgroup_size: 125
    .name:           fft_rtc_fwd_len3750_factors_3_5_5_10_5_wgs_125_tpt_125_halfLds_sp_op_CI_CI_unitstride_sbrr_dirReg
    .private_segment_fixed_size: 0
    .sgpr_count:     29
    .sgpr_spill_count: 0
    .symbol:         fft_rtc_fwd_len3750_factors_3_5_5_10_5_wgs_125_tpt_125_halfLds_sp_op_CI_CI_unitstride_sbrr_dirReg.kd
    .uniform_work_group_size: 1
    .uses_dynamic_stack: false
    .vgpr_count:     159
    .vgpr_spill_count: 0
    .wavefront_size: 32
    .workgroup_processor_mode: 1
amdhsa.target:   amdgcn-amd-amdhsa--gfx1030
amdhsa.version:
  - 1
  - 2
...

	.end_amdgpu_metadata
